;; amdgpu-corpus repo=ROCm/rocSOLVER kind=compiled arch=gfx1030 opt=O3
	.amdgcn_target "amdgcn-amd-amdhsa--gfx1030"
	.amdhsa_code_object_version 6
	.section	.text._ZN9rocsolver6v33100L10reset_infoIiiiEEvPT_T0_T1_S4_,"axG",@progbits,_ZN9rocsolver6v33100L10reset_infoIiiiEEvPT_T0_T1_S4_,comdat
	.globl	_ZN9rocsolver6v33100L10reset_infoIiiiEEvPT_T0_T1_S4_ ; -- Begin function _ZN9rocsolver6v33100L10reset_infoIiiiEEvPT_T0_T1_S4_
	.p2align	8
	.type	_ZN9rocsolver6v33100L10reset_infoIiiiEEvPT_T0_T1_S4_,@function
_ZN9rocsolver6v33100L10reset_infoIiiiEEvPT_T0_T1_S4_: ; @_ZN9rocsolver6v33100L10reset_infoIiiiEEvPT_T0_T1_S4_
; %bb.0:
	s_clause 0x1
	s_load_dword s7, s[4:5], 0x24
	s_load_dwordx4 s[0:3], s[4:5], 0x8
	s_waitcnt lgkmcnt(0)
	s_and_b32 s3, s7, 0xffff
	v_mad_u64_u32 v[0:1], null, s6, s3, v[0:1]
	v_cmp_gt_i32_e32 vcc_lo, s0, v0
	s_and_saveexec_b32 s0, vcc_lo
	s_cbranch_execz .LBB0_2
; %bb.1:
	s_load_dwordx2 s[4:5], s[4:5], 0x0
	v_ashrrev_i32_e32 v1, 31, v0
	s_mov_b32 s0, s1
	v_mad_u64_u32 v[3:4], null, v0, s2, s[0:1]
	v_lshlrev_b64 v[1:2], 2, v[0:1]
	s_waitcnt lgkmcnt(0)
	v_add_co_u32 v0, vcc_lo, s4, v1
	v_add_co_ci_u32_e64 v1, null, s5, v2, vcc_lo
	global_store_dword v[0:1], v3, off
.LBB0_2:
	s_endpgm
	.section	.rodata,"a",@progbits
	.p2align	6, 0x0
	.amdhsa_kernel _ZN9rocsolver6v33100L10reset_infoIiiiEEvPT_T0_T1_S4_
		.amdhsa_group_segment_fixed_size 0
		.amdhsa_private_segment_fixed_size 0
		.amdhsa_kernarg_size 280
		.amdhsa_user_sgpr_count 6
		.amdhsa_user_sgpr_private_segment_buffer 1
		.amdhsa_user_sgpr_dispatch_ptr 0
		.amdhsa_user_sgpr_queue_ptr 0
		.amdhsa_user_sgpr_kernarg_segment_ptr 1
		.amdhsa_user_sgpr_dispatch_id 0
		.amdhsa_user_sgpr_flat_scratch_init 0
		.amdhsa_user_sgpr_private_segment_size 0
		.amdhsa_wavefront_size32 1
		.amdhsa_uses_dynamic_stack 0
		.amdhsa_system_sgpr_private_segment_wavefront_offset 0
		.amdhsa_system_sgpr_workgroup_id_x 1
		.amdhsa_system_sgpr_workgroup_id_y 0
		.amdhsa_system_sgpr_workgroup_id_z 0
		.amdhsa_system_sgpr_workgroup_info 0
		.amdhsa_system_vgpr_workitem_id 0
		.amdhsa_next_free_vgpr 5
		.amdhsa_next_free_sgpr 8
		.amdhsa_reserve_vcc 1
		.amdhsa_reserve_flat_scratch 0
		.amdhsa_float_round_mode_32 0
		.amdhsa_float_round_mode_16_64 0
		.amdhsa_float_denorm_mode_32 3
		.amdhsa_float_denorm_mode_16_64 3
		.amdhsa_dx10_clamp 1
		.amdhsa_ieee_mode 1
		.amdhsa_fp16_overflow 0
		.amdhsa_workgroup_processor_mode 1
		.amdhsa_memory_ordered 1
		.amdhsa_forward_progress 1
		.amdhsa_shared_vgpr_count 0
		.amdhsa_exception_fp_ieee_invalid_op 0
		.amdhsa_exception_fp_denorm_src 0
		.amdhsa_exception_fp_ieee_div_zero 0
		.amdhsa_exception_fp_ieee_overflow 0
		.amdhsa_exception_fp_ieee_underflow 0
		.amdhsa_exception_fp_ieee_inexact 0
		.amdhsa_exception_int_div_zero 0
	.end_amdhsa_kernel
	.section	.text._ZN9rocsolver6v33100L10reset_infoIiiiEEvPT_T0_T1_S4_,"axG",@progbits,_ZN9rocsolver6v33100L10reset_infoIiiiEEvPT_T0_T1_S4_,comdat
.Lfunc_end0:
	.size	_ZN9rocsolver6v33100L10reset_infoIiiiEEvPT_T0_T1_S4_, .Lfunc_end0-_ZN9rocsolver6v33100L10reset_infoIiiiEEvPT_T0_T1_S4_
                                        ; -- End function
	.set _ZN9rocsolver6v33100L10reset_infoIiiiEEvPT_T0_T1_S4_.num_vgpr, 5
	.set _ZN9rocsolver6v33100L10reset_infoIiiiEEvPT_T0_T1_S4_.num_agpr, 0
	.set _ZN9rocsolver6v33100L10reset_infoIiiiEEvPT_T0_T1_S4_.numbered_sgpr, 8
	.set _ZN9rocsolver6v33100L10reset_infoIiiiEEvPT_T0_T1_S4_.num_named_barrier, 0
	.set _ZN9rocsolver6v33100L10reset_infoIiiiEEvPT_T0_T1_S4_.private_seg_size, 0
	.set _ZN9rocsolver6v33100L10reset_infoIiiiEEvPT_T0_T1_S4_.uses_vcc, 1
	.set _ZN9rocsolver6v33100L10reset_infoIiiiEEvPT_T0_T1_S4_.uses_flat_scratch, 0
	.set _ZN9rocsolver6v33100L10reset_infoIiiiEEvPT_T0_T1_S4_.has_dyn_sized_stack, 0
	.set _ZN9rocsolver6v33100L10reset_infoIiiiEEvPT_T0_T1_S4_.has_recursion, 0
	.set _ZN9rocsolver6v33100L10reset_infoIiiiEEvPT_T0_T1_S4_.has_indirect_call, 0
	.section	.AMDGPU.csdata,"",@progbits
; Kernel info:
; codeLenInByte = 116
; TotalNumSgprs: 10
; NumVgprs: 5
; ScratchSize: 0
; MemoryBound: 0
; FloatMode: 240
; IeeeMode: 1
; LDSByteSize: 0 bytes/workgroup (compile time only)
; SGPRBlocks: 0
; VGPRBlocks: 0
; NumSGPRsForWavesPerEU: 10
; NumVGPRsForWavesPerEU: 5
; Occupancy: 16
; WaveLimiterHint : 0
; COMPUTE_PGM_RSRC2:SCRATCH_EN: 0
; COMPUTE_PGM_RSRC2:USER_SGPR: 6
; COMPUTE_PGM_RSRC2:TRAP_HANDLER: 0
; COMPUTE_PGM_RSRC2:TGID_X_EN: 1
; COMPUTE_PGM_RSRC2:TGID_Y_EN: 0
; COMPUTE_PGM_RSRC2:TGID_Z_EN: 0
; COMPUTE_PGM_RSRC2:TIDIG_COMP_CNT: 0
	.section	.text._ZN9rocsolver6v33100L10bdsqr_initIffEEviPT0_lS3_lPiiS2_S2_S4_S3_lS4_,"axG",@progbits,_ZN9rocsolver6v33100L10bdsqr_initIffEEviPT0_lS3_lPiiS2_S2_S4_S3_lS4_,comdat
	.globl	_ZN9rocsolver6v33100L10bdsqr_initIffEEviPT0_lS3_lPiiS2_S2_S4_S3_lS4_ ; -- Begin function _ZN9rocsolver6v33100L10bdsqr_initIffEEviPT0_lS3_lPiiS2_S2_S4_S3_lS4_
	.p2align	8
	.type	_ZN9rocsolver6v33100L10bdsqr_initIffEEviPT0_lS3_lPiiS2_S2_S4_S3_lS4_,@function
_ZN9rocsolver6v33100L10bdsqr_initIffEEviPT0_lS3_lPiiS2_S2_S4_S3_lS4_: ; @_ZN9rocsolver6v33100L10bdsqr_initIffEEviPT0_lS3_lPiiS2_S2_S4_S3_lS4_
; %bb.0:
	s_clause 0x1
	s_load_dword s2, s[4:5], 0x0
	s_load_dwordx8 s[8:15], s[4:5], 0x8
	s_mov_b32 s6, s7
	s_ashr_i32 s7, s7, 31
	s_waitcnt lgkmcnt(0)
	s_ashr_i32 s3, s2, 31
	s_mul_hi_u32 s1, s10, s6
	s_mul_i32 s16, s10, s7
	s_mul_i32 s11, s11, s6
	s_add_i32 s1, s1, s16
	s_mul_i32 s0, s10, s6
	s_add_i32 s1, s1, s11
	s_mul_hi_u32 s10, s14, s6
	s_lshl_b64 s[0:1], s[0:1], 2
	s_mul_i32 s11, s14, s7
	s_add_u32 s18, s8, s0
	s_mul_i32 s15, s15, s6
	s_addc_u32 s19, s9, s1
	s_add_i32 s1, s10, s11
	s_mul_i32 s0, s14, s6
	s_add_i32 s1, s1, s15
	s_load_dword s8, s[18:19], 0x0
	s_lshl_b64 s[0:1], s[0:1], 2
	v_cmp_lt_i64_e64 s9, s[2:3], 2
	s_add_u32 s22, s12, s0
	s_addc_u32 s23, s13, s1
	s_lshl_b64 s[0:1], s[2:3], 2
	v_cmp_gt_i64_e64 s28, s[2:3], 1
	s_add_u32 s16, s18, s0
	s_addc_u32 s17, s19, s1
	s_add_u32 s0, s16, -4
	s_addc_u32 s1, s17, -1
	s_load_dword s1, s[0:1], 0x0
	s_load_dwordx2 s[20:21], s[4:5], 0x28
	s_and_b32 vcc_lo, exec_lo, s9
	s_waitcnt lgkmcnt(0)
	v_mov_b32_e32 v0, s8
	v_cmp_ge_f32_e64 s0, s8, s1
	v_cndmask_b32_e64 v0, s1, v0, s0
	v_and_b32_e32 v3, 0x7fffffff, v0
	s_cbranch_vccnz .LBB1_3
; %bb.1:
	v_mov_b32_e32 v0, v3
	s_add_i32 s1, s2, -2
	s_mov_b32 s3, 1
	s_inst_prefetch 0x1
	.p2align	6
.LBB1_2:                                ; =>This Inner Loop Header: Depth=1
	s_and_b32 s8, s0, exec_lo
	s_cselect_b32 s8, s3, s1
	s_add_i32 s9, s3, -1
	s_and_b32 s10, s0, exec_lo
	s_cselect_b32 s10, s9, s1
	s_ashr_i32 s11, s10, 31
	s_lshl_b64 s[10:11], s[10:11], 2
	s_add_u32 s10, s22, s10
	s_addc_u32 s11, s23, s11
	s_load_dword s9, s[10:11], 0x0
	s_waitcnt lgkmcnt(0)
	v_add_f32_e64 v1, v0, |s9|
	s_ashr_i32 s9, s8, 31
	s_lshl_b64 s[8:9], s[8:9], 2
	v_div_scale_f32 v2, null, v1, v1, v0
	v_div_scale_f32 v6, vcc_lo, v0, v1, v0
	s_add_u32 s8, s18, s8
	v_rcp_f32_e32 v4, v2
	s_addc_u32 s9, s19, s9
	s_add_i32 s3, s3, 1
	s_load_dword s8, s[8:9], 0x0
	s_add_i32 s1, s1, -1
	s_cmp_lg_u32 s3, s2
	v_fma_f32 v5, -v2, v4, 1.0
	v_fmac_f32_e32 v4, v5, v4
	v_mul_f32_e32 v5, v6, v4
	v_fma_f32 v7, -v2, v5, v6
	v_fmac_f32_e32 v5, v7, v4
	v_fma_f32 v2, -v2, v5, v6
	v_div_fmas_f32 v2, v2, v4, v5
	v_div_fixup_f32 v0, v2, v1, v0
	s_waitcnt lgkmcnt(0)
	v_mul_f32_e64 v0, |s8|, v0
	v_cmp_lt_f32_e32 vcc_lo, v0, v3
	v_cndmask_b32_e32 v3, v3, v0, vcc_lo
	s_cbranch_scc1 .LBB1_2
.LBB1_3:
	s_inst_prefetch 0x2
	v_cvt_f64_i32_e32 v[0:1], s2
	s_load_dwordx8 s[8:15], s[4:5], 0x40
	s_lshl_b32 s27, s2, 1
	s_load_dwordx4 s[36:39], s[4:5], 0x30
	s_mul_i32 s0, s27, s6
	s_mov_b32 s29, 0
	s_ashr_i32 s1, s0, 31
	s_lshl_b64 s[24:25], s[0:1], 2
	s_waitcnt lgkmcnt(0)
	s_mul_i32 s0, s12, s7
	v_cmp_gt_f64_e32 vcc_lo, 0x10000000, v[0:1]
	s_mul_hi_u32 s1, s12, s6
	s_add_u32 s26, s8, s24
	s_mul_i32 s3, s13, s6
	s_addc_u32 s13, s9, s25
	s_add_i32 s1, s1, s0
	s_mul_i32 s0, s12, s6
	s_add_i32 s1, s1, s3
	s_mov_b32 s12, 0
	s_lshl_b64 s[0:1], s[0:1], 2
	s_add_u32 s0, s10, s0
	s_addc_u32 s1, s11, s1
	s_add_i32 s3, s2, -1
	s_and_b32 s10, vcc_lo, exec_lo
	s_cselect_b32 s10, 0x100, 0
	v_ldexp_f64 v[0:1], v[0:1], s10
	s_cselect_b32 s10, 0xffffff80, 0
	v_rsq_f64_e32 v[4:5], v[0:1]
	v_cmp_class_f64_e64 vcc_lo, v[0:1], 0x260
	v_mul_f64 v[6:7], v[0:1], v[4:5]
	v_mul_f64 v[4:5], v[4:5], 0.5
	v_fma_f64 v[8:9], -v[4:5], v[6:7], 0.5
	v_fma_f64 v[6:7], v[6:7], v[8:9], v[6:7]
	v_fma_f64 v[4:5], v[4:5], v[8:9], v[4:5]
	v_fma_f64 v[8:9], -v[6:7], v[6:7], v[0:1]
	v_fma_f64 v[6:7], v[8:9], v[4:5], v[6:7]
	v_fma_f64 v[8:9], -v[6:7], v[6:7], v[0:1]
	v_fma_f64 v[4:5], v[8:9], v[4:5], v[6:7]
	v_ldexp_f64 v[4:5], v[4:5], s10
	v_cndmask_b32_e32 v1, v5, v1, vcc_lo
	v_cndmask_b32_e32 v0, v4, v0, vcc_lo
	v_cvt_f32_f64_e32 v0, v[0:1]
	v_mul_f32_e32 v1, s38, v3
	v_div_scale_f32 v2, null, v0, v0, v1
	v_div_scale_f32 v6, vcc_lo, v1, v0, v1
	v_rcp_f32_e32 v4, v2
	v_fma_f32 v5, -v2, v4, 1.0
	v_fmac_f32_e32 v4, v5, v4
	v_mul_f32_e32 v5, v6, v4
	v_fma_f32 v7, -v2, v5, v6
	v_fmac_f32_e32 v5, v7, v4
	v_fma_f32 v2, -v2, v5, v6
	v_cvt_f32_i32_e32 v6, s36
	v_div_fmas_f32 v2, v2, v4, v5
	v_mul_f32_e32 v4, s37, v6
	v_cndmask_b32_e64 v5, 0, 1, s28
	v_div_fixup_f32 v1, v2, v0, v1
	v_mov_b32_e32 v0, 0
	v_cmp_lt_f32_e32 vcc_lo, v1, v4
	v_cndmask_b32_e32 v4, v1, v4, vcc_lo
	s_andn2_b32 vcc_lo, exec_lo, s28
	s_mov_b32 s28, 0
	global_store_dwordx2 v0, v[3:4], s[0:1]
	s_cbranch_vccnz .LBB1_15
; %bb.4:
	s_add_u32 s4, s8, s24
	s_addc_u32 s5, s9, s25
	s_add_u32 s4, s4, 8
	s_addc_u32 s5, s5, 0
	s_mov_b32 s24, 0
	s_mov_b64 s[8:9], 0
	s_branch .LBB1_7
.LBB1_5:                                ;   in Loop: Header=BB1_7 Depth=1
	s_mov_b32 s24, s25
.LBB1_6:                                ;   in Loop: Header=BB1_7 Depth=1
	v_and_b32_e32 v2, 0x7fffffff, v2
	s_waitcnt vmcnt(0)
	v_cmp_nlg_f32_e64 s10, 0x7f800000, |v1|
	v_cmp_nlg_f32_e32 vcc_lo, 0x7f800000, v2
	s_or_b32 s10, s10, vcc_lo
	s_or_b32 s29, s10, s29
	s_add_u32 s4, s4, 16
	s_addc_u32 s5, s5, 0
	s_add_u32 s8, s8, 4
	s_addc_u32 s9, s9, 0
	s_cmp_eq_u32 s3, s24
	s_cbranch_scc1 .LBB1_15
.LBB1_7:                                ; =>This Inner Loop Header: Depth=1
	s_add_i32 s10, s8, 3
	s_cmp_ge_i32 s10, s27
	s_cbranch_scc1 .LBB1_9
; %bb.8:                                ;   in Loop: Header=BB1_7 Depth=1
	v_mov_b32_e32 v1, v0
	v_mov_b32_e32 v2, v0
	;; [unrolled: 1-line block ×3, first 2 shown]
	global_store_dwordx4 v0, v[0:3], s[4:5] offset:-8
	s_waitcnt_vscnt null, 0x0
	buffer_gl1_inv
	buffer_gl0_inv
.LBB1_9:                                ;   in Loop: Header=BB1_7 Depth=1
	s_add_u32 s30, s18, s8
	s_addc_u32 s31, s19, s9
	s_add_u32 s10, s22, s8
	s_addc_u32 s11, s23, s9
	s_clause 0x1
	global_load_dword v2, v0, s[10:11]
	global_load_dword v1, v0, s[30:31]
	s_mov_b32 s30, -1
	s_waitcnt vmcnt(1)
	v_cmp_lt_f32_e64 s25, |v2|, v4
	s_and_b32 vcc_lo, exec_lo, s25
                                        ; implicit-def: $sgpr25
	s_cbranch_vccnz .LBB1_11
; %bb.10:                               ;   in Loop: Header=BB1_7 Depth=1
	s_add_i32 s25, s24, 1
	s_mov_b32 s30, 0
.LBB1_11:                               ;   in Loop: Header=BB1_7 Depth=1
	s_andn2_b32 vcc_lo, exec_lo, s30
	s_cbranch_vccnz .LBB1_5
; %bb.12:                               ;   in Loop: Header=BB1_7 Depth=1
	s_cmp_ge_i32 s28, s24
	global_store_dword v0, v0, s[10:11]
	s_cbranch_scc1 .LBB1_14
; %bb.13:                               ;   in Loop: Header=BB1_7 Depth=1
	s_lshl_b32 s10, s12, 2
	v_mov_b32_e32 v6, s28
	s_ashr_i32 s11, s10, 31
	v_mov_b32_e32 v7, s24
	s_lshl_b64 s[10:11], s[10:11], 2
	s_add_i32 s12, s12, 1
	s_add_u32 s10, s26, s10
	s_addc_u32 s11, s13, s11
	global_store_dwordx2 v0, v[6:7], s[10:11] offset:4
.LBB1_14:                               ;   in Loop: Header=BB1_7 Depth=1
	s_add_i32 s28, s24, 1
	s_mov_b32 s24, s28
	s_branch .LBB1_6
.LBB1_15:
	v_mov_b32_e32 v1, 0
	s_cmp_lt_i32 s28, s3
	global_load_dword v0, v1, s[16:17] offset:-4
	s_cbranch_scc0 .LBB1_17
; %bb.16:
	s_lshl_b32 s4, s12, 2
	v_mov_b32_e32 v2, s28
	s_ashr_i32 s5, s4, 31
	v_mov_b32_e32 v3, s3
	s_lshl_b64 s[4:5], s[4:5], 2
	s_add_u32 s4, s26, s4
	s_addc_u32 s5, s13, s5
	global_store_dwordx2 v1, v[2:3], s[4:5] offset:4
.LBB1_17:
	s_waitcnt vmcnt(0)
	v_cmp_nlg_f32_e64 s4, 0x7f800000, |v0|
	s_or_b32 s4, s4, s29
	s_andn2_b32 vcc_lo, exec_lo, s4
	s_mov_b32 s4, -1
	s_cbranch_vccz .LBB1_22
; %bb.18:
	s_add_i32 s5, s12, 1
	s_lshl_b64 s[8:9], s[6:7], 2
	v_mov_b32_e32 v1, 0
	v_cvt_f32_i32_e32 v0, s5
	s_add_u32 s8, s20, s8
	s_addc_u32 s9, s21, s9
	s_mov_b32 s4, 0
	s_cmp_lt_i32 s12, 0
	global_store_dwordx2 v1, v[0:1], s[0:1] offset:8
	global_store_dword v1, v1, s[8:9]
	s_cbranch_scc1 .LBB1_22
; %bb.19:
	v_mov_b32_e32 v3, 0
	s_mov_b32 s0, 0
.LBB1_20:                               ; =>This Inner Loop Header: Depth=1
	v_mov_b32_e32 v2, s5
	global_atomic_cmpswap v3, v1, v[2:3], s[14:15] offset:4 glc
	s_waitcnt vmcnt(0)
	v_cmp_lt_i32_e32 vcc_lo, s12, v3
	s_or_b32 s0, vcc_lo, s0
	s_andn2_b32 exec_lo, exec_lo, s0
	s_cbranch_execnz .LBB1_20
; %bb.21:
	s_or_b32 exec_lo, exec_lo, s0
.LBB1_22:
	s_andn2_b32 vcc_lo, exec_lo, s4
	s_cbranch_vccnz .LBB1_28
; %bb.23:
	v_cmp_ne_u32_e32 vcc_lo, 1, v5
	s_cbranch_vccnz .LBB1_26
; %bb.24:
	v_mov_b32_e32 v0, 0
	v_mov_b32_e32 v1, 0x7fc00000
.LBB1_25:                               ; =>This Inner Loop Header: Depth=1
	s_add_i32 s3, s3, -1
	global_store_dword v0, v1, s[18:19]
	global_store_dword v0, v1, s[22:23]
	s_add_u32 s18, s18, 4
	s_addc_u32 s19, s19, 0
	s_add_u32 s22, s22, 4
	s_addc_u32 s23, s23, 0
	s_cmp_eq_u32 s3, 0
	s_cbranch_scc0 .LBB1_25
.LBB1_26:
	v_mov_b32_e32 v0, 0
	v_mov_b32_e32 v1, 0x7fc00000
	s_mov_b32 s0, exec_lo
	s_lshl_b64 s[4:5], s[6:7], 2
	v_mbcnt_lo_u32_b32 v2, s0, 0
	s_add_u32 s6, s20, s4
	global_store_dword v0, v1, s[16:17] offset:-4
	v_mov_b32_e32 v1, s2
	v_mov_b32_e32 v3, 2
	s_addc_u32 s7, s21, s5
	s_add_u32 s2, s14, s4
	s_addc_u32 s3, s15, s5
	global_store_dword v0, v1, s[6:7]
	global_store_dword v0, v3, s[2:3] offset:8
	s_mov_b32 s1, exec_lo
	v_cmpx_eq_u32_e32 0, v2
	s_cbranch_execz .LBB1_28
; %bb.27:
	s_bcnt1_i32_b32 s0, s0
	v_mov_b32_e32 v1, s0
	global_atomic_add v0, v1, s[14:15]
.LBB1_28:
	s_endpgm
	.section	.rodata,"a",@progbits
	.p2align	6, 0x0
	.amdhsa_kernel _ZN9rocsolver6v33100L10bdsqr_initIffEEviPT0_lS3_lPiiS2_S2_S4_S3_lS4_
		.amdhsa_group_segment_fixed_size 0
		.amdhsa_private_segment_fixed_size 0
		.amdhsa_kernarg_size 96
		.amdhsa_user_sgpr_count 6
		.amdhsa_user_sgpr_private_segment_buffer 1
		.amdhsa_user_sgpr_dispatch_ptr 0
		.amdhsa_user_sgpr_queue_ptr 0
		.amdhsa_user_sgpr_kernarg_segment_ptr 1
		.amdhsa_user_sgpr_dispatch_id 0
		.amdhsa_user_sgpr_flat_scratch_init 0
		.amdhsa_user_sgpr_private_segment_size 0
		.amdhsa_wavefront_size32 1
		.amdhsa_uses_dynamic_stack 0
		.amdhsa_system_sgpr_private_segment_wavefront_offset 0
		.amdhsa_system_sgpr_workgroup_id_x 1
		.amdhsa_system_sgpr_workgroup_id_y 1
		.amdhsa_system_sgpr_workgroup_id_z 0
		.amdhsa_system_sgpr_workgroup_info 0
		.amdhsa_system_vgpr_workitem_id 0
		.amdhsa_next_free_vgpr 10
		.amdhsa_next_free_sgpr 40
		.amdhsa_reserve_vcc 1
		.amdhsa_reserve_flat_scratch 0
		.amdhsa_float_round_mode_32 0
		.amdhsa_float_round_mode_16_64 0
		.amdhsa_float_denorm_mode_32 3
		.amdhsa_float_denorm_mode_16_64 3
		.amdhsa_dx10_clamp 1
		.amdhsa_ieee_mode 1
		.amdhsa_fp16_overflow 0
		.amdhsa_workgroup_processor_mode 1
		.amdhsa_memory_ordered 1
		.amdhsa_forward_progress 1
		.amdhsa_shared_vgpr_count 0
		.amdhsa_exception_fp_ieee_invalid_op 0
		.amdhsa_exception_fp_denorm_src 0
		.amdhsa_exception_fp_ieee_div_zero 0
		.amdhsa_exception_fp_ieee_overflow 0
		.amdhsa_exception_fp_ieee_underflow 0
		.amdhsa_exception_fp_ieee_inexact 0
		.amdhsa_exception_int_div_zero 0
	.end_amdhsa_kernel
	.section	.text._ZN9rocsolver6v33100L10bdsqr_initIffEEviPT0_lS3_lPiiS2_S2_S4_S3_lS4_,"axG",@progbits,_ZN9rocsolver6v33100L10bdsqr_initIffEEviPT0_lS3_lPiiS2_S2_S4_S3_lS4_,comdat
.Lfunc_end1:
	.size	_ZN9rocsolver6v33100L10bdsqr_initIffEEviPT0_lS3_lPiiS2_S2_S4_S3_lS4_, .Lfunc_end1-_ZN9rocsolver6v33100L10bdsqr_initIffEEviPT0_lS3_lPiiS2_S2_S4_S3_lS4_
                                        ; -- End function
	.set _ZN9rocsolver6v33100L10bdsqr_initIffEEviPT0_lS3_lPiiS2_S2_S4_S3_lS4_.num_vgpr, 10
	.set _ZN9rocsolver6v33100L10bdsqr_initIffEEviPT0_lS3_lPiiS2_S2_S4_S3_lS4_.num_agpr, 0
	.set _ZN9rocsolver6v33100L10bdsqr_initIffEEviPT0_lS3_lPiiS2_S2_S4_S3_lS4_.numbered_sgpr, 40
	.set _ZN9rocsolver6v33100L10bdsqr_initIffEEviPT0_lS3_lPiiS2_S2_S4_S3_lS4_.num_named_barrier, 0
	.set _ZN9rocsolver6v33100L10bdsqr_initIffEEviPT0_lS3_lPiiS2_S2_S4_S3_lS4_.private_seg_size, 0
	.set _ZN9rocsolver6v33100L10bdsqr_initIffEEviPT0_lS3_lPiiS2_S2_S4_S3_lS4_.uses_vcc, 1
	.set _ZN9rocsolver6v33100L10bdsqr_initIffEEviPT0_lS3_lPiiS2_S2_S4_S3_lS4_.uses_flat_scratch, 0
	.set _ZN9rocsolver6v33100L10bdsqr_initIffEEviPT0_lS3_lPiiS2_S2_S4_S3_lS4_.has_dyn_sized_stack, 0
	.set _ZN9rocsolver6v33100L10bdsqr_initIffEEviPT0_lS3_lPiiS2_S2_S4_S3_lS4_.has_recursion, 0
	.set _ZN9rocsolver6v33100L10bdsqr_initIffEEviPT0_lS3_lPiiS2_S2_S4_S3_lS4_.has_indirect_call, 0
	.section	.AMDGPU.csdata,"",@progbits
; Kernel info:
; codeLenInByte = 1468
; TotalNumSgprs: 42
; NumVgprs: 10
; ScratchSize: 0
; MemoryBound: 0
; FloatMode: 240
; IeeeMode: 1
; LDSByteSize: 0 bytes/workgroup (compile time only)
; SGPRBlocks: 0
; VGPRBlocks: 1
; NumSGPRsForWavesPerEU: 42
; NumVGPRsForWavesPerEU: 10
; Occupancy: 16
; WaveLimiterHint : 0
; COMPUTE_PGM_RSRC2:SCRATCH_EN: 0
; COMPUTE_PGM_RSRC2:USER_SGPR: 6
; COMPUTE_PGM_RSRC2:TRAP_HANDLER: 0
; COMPUTE_PGM_RSRC2:TGID_X_EN: 1
; COMPUTE_PGM_RSRC2:TGID_Y_EN: 1
; COMPUTE_PGM_RSRC2:TGID_Z_EN: 0
; COMPUTE_PGM_RSRC2:TIDIG_COMP_CNT: 0
	.section	.text._ZN9rocsolver6v33100L11swap_kernelIfiEEvT0_PT_S2_S4_S2_,"axG",@progbits,_ZN9rocsolver6v33100L11swap_kernelIfiEEvT0_PT_S2_S4_S2_,comdat
	.globl	_ZN9rocsolver6v33100L11swap_kernelIfiEEvT0_PT_S2_S4_S2_ ; -- Begin function _ZN9rocsolver6v33100L11swap_kernelIfiEEvT0_PT_S2_S4_S2_
	.p2align	8
	.type	_ZN9rocsolver6v33100L11swap_kernelIfiEEvT0_PT_S2_S4_S2_,@function
_ZN9rocsolver6v33100L11swap_kernelIfiEEvT0_PT_S2_S4_S2_: ; @_ZN9rocsolver6v33100L11swap_kernelIfiEEvT0_PT_S2_S4_S2_
; %bb.0:
	s_load_dword s12, s[4:5], 0x0
	s_waitcnt lgkmcnt(0)
	s_cmp_lt_i32 s12, 1
	s_cbranch_scc1 .LBB2_10
; %bb.1:
	s_clause 0x5
	s_load_dword s0, s[4:5], 0x34
	s_load_dword s1, s[4:5], 0x10
	;; [unrolled: 1-line block ×4, first 2 shown]
	s_load_dwordx2 s[2:3], s[4:5], 0x8
	s_load_dwordx2 s[4:5], s[4:5], 0x18
	s_waitcnt lgkmcnt(0)
	s_and_b32 s0, s0, 0xffff
	s_cmp_eq_u32 s1, 1
	v_mad_u64_u32 v[0:1], null, s6, s0, v[0:1]
	s_cselect_b32 s9, -1, 0
	s_cmp_eq_u32 s8, 1
	s_mul_i32 s6, s7, s0
	s_cselect_b32 s10, -1, 0
	s_and_b32 s7, s9, s10
	v_cmp_gt_i32_e64 s0, s12, v0
	s_and_b32 vcc_lo, exec_lo, s7
	s_mov_b32 s7, -1
	s_cbranch_vccnz .LBB2_6
; %bb.2:
	s_and_saveexec_b32 s7, s0
	s_cbranch_execz .LBB2_5
; %bb.3:
	v_mad_i64_i32 v[1:2], null, s8, v0, 0
	v_mad_i64_i32 v[3:4], null, s1, v0, 0
	v_mov_b32_e32 v5, v0
	s_mul_hi_i32 s9, s8, s6
	s_mul_i32 s8, s8, s6
	s_mul_hi_i32 s11, s1, s6
	v_lshlrev_b64 v[1:2], 2, v[1:2]
	s_mul_i32 s10, s1, s6
	v_lshlrev_b64 v[3:4], 2, v[3:4]
	s_lshl_b64 s[8:9], s[8:9], 2
	s_lshl_b64 s[10:11], s[10:11], 2
	s_mov_b32 s13, 0
	v_add_co_u32 v1, vcc_lo, s4, v1
	v_add_co_ci_u32_e64 v2, null, s5, v2, vcc_lo
	v_add_co_u32 v3, vcc_lo, s2, v3
	v_add_co_ci_u32_e64 v4, null, s3, v4, vcc_lo
	.p2align	6
.LBB2_4:                                ; =>This Inner Loop Header: Depth=1
	global_load_dword v6, v[3:4], off
	global_load_dword v7, v[1:2], off
	v_add_nc_u32_e32 v5, s6, v5
	s_waitcnt vmcnt(1)
	global_store_dword v[1:2], v6, off
	s_waitcnt vmcnt(0)
	global_store_dword v[3:4], v7, off
	v_add_co_u32 v1, s1, v1, s8
	v_cmp_le_i32_e32 vcc_lo, s12, v5
	v_add_co_ci_u32_e64 v2, null, s9, v2, s1
	v_add_co_u32 v3, s1, v3, s10
	v_add_co_ci_u32_e64 v4, null, s11, v4, s1
	s_or_b32 s13, vcc_lo, s13
	s_andn2_b32 exec_lo, exec_lo, s13
	s_cbranch_execnz .LBB2_4
.LBB2_5:
	s_or_b32 exec_lo, exec_lo, s7
	s_mov_b32 s7, 0
.LBB2_6:
	s_andn2_b32 vcc_lo, exec_lo, s7
	s_cbranch_vccnz .LBB2_10
; %bb.7:
	s_and_saveexec_b32 s1, s0
	s_cbranch_execz .LBB2_10
; %bb.8:
	v_ashrrev_i32_e32 v1, 31, v0
	s_ashr_i32 s7, s6, 31
	s_mov_b32 s1, 0
	s_lshl_b64 s[8:9], s[6:7], 2
	v_lshlrev_b64 v[1:2], 2, v[0:1]
	.p2align	6
.LBB2_9:                                ; =>This Inner Loop Header: Depth=1
	v_add_co_u32 v3, vcc_lo, s2, v1
	v_add_co_ci_u32_e64 v4, null, s3, v2, vcc_lo
	v_add_co_u32 v5, vcc_lo, s4, v1
	v_add_co_ci_u32_e64 v6, null, s5, v2, vcc_lo
	global_load_dword v7, v[3:4], off
	global_load_dword v8, v[5:6], off
	v_add_nc_u32_e32 v0, s6, v0
	v_add_co_u32 v1, s0, v1, s8
	v_add_co_ci_u32_e64 v2, null, s9, v2, s0
	v_cmp_le_i32_e32 vcc_lo, s12, v0
	s_waitcnt vmcnt(1)
	global_store_dword v[5:6], v7, off
	s_waitcnt vmcnt(0)
	global_store_dword v[3:4], v8, off
	s_or_b32 s1, vcc_lo, s1
	s_andn2_b32 exec_lo, exec_lo, s1
	s_cbranch_execnz .LBB2_9
.LBB2_10:
	s_endpgm
	.section	.rodata,"a",@progbits
	.p2align	6, 0x0
	.amdhsa_kernel _ZN9rocsolver6v33100L11swap_kernelIfiEEvT0_PT_S2_S4_S2_
		.amdhsa_group_segment_fixed_size 0
		.amdhsa_private_segment_fixed_size 0
		.amdhsa_kernarg_size 296
		.amdhsa_user_sgpr_count 6
		.amdhsa_user_sgpr_private_segment_buffer 1
		.amdhsa_user_sgpr_dispatch_ptr 0
		.amdhsa_user_sgpr_queue_ptr 0
		.amdhsa_user_sgpr_kernarg_segment_ptr 1
		.amdhsa_user_sgpr_dispatch_id 0
		.amdhsa_user_sgpr_flat_scratch_init 0
		.amdhsa_user_sgpr_private_segment_size 0
		.amdhsa_wavefront_size32 1
		.amdhsa_uses_dynamic_stack 0
		.amdhsa_system_sgpr_private_segment_wavefront_offset 0
		.amdhsa_system_sgpr_workgroup_id_x 1
		.amdhsa_system_sgpr_workgroup_id_y 0
		.amdhsa_system_sgpr_workgroup_id_z 0
		.amdhsa_system_sgpr_workgroup_info 0
		.amdhsa_system_vgpr_workitem_id 0
		.amdhsa_next_free_vgpr 9
		.amdhsa_next_free_sgpr 14
		.amdhsa_reserve_vcc 1
		.amdhsa_reserve_flat_scratch 0
		.amdhsa_float_round_mode_32 0
		.amdhsa_float_round_mode_16_64 0
		.amdhsa_float_denorm_mode_32 3
		.amdhsa_float_denorm_mode_16_64 3
		.amdhsa_dx10_clamp 1
		.amdhsa_ieee_mode 1
		.amdhsa_fp16_overflow 0
		.amdhsa_workgroup_processor_mode 1
		.amdhsa_memory_ordered 1
		.amdhsa_forward_progress 1
		.amdhsa_shared_vgpr_count 0
		.amdhsa_exception_fp_ieee_invalid_op 0
		.amdhsa_exception_fp_denorm_src 0
		.amdhsa_exception_fp_ieee_div_zero 0
		.amdhsa_exception_fp_ieee_overflow 0
		.amdhsa_exception_fp_ieee_underflow 0
		.amdhsa_exception_fp_ieee_inexact 0
		.amdhsa_exception_int_div_zero 0
	.end_amdhsa_kernel
	.section	.text._ZN9rocsolver6v33100L11swap_kernelIfiEEvT0_PT_S2_S4_S2_,"axG",@progbits,_ZN9rocsolver6v33100L11swap_kernelIfiEEvT0_PT_S2_S4_S2_,comdat
.Lfunc_end2:
	.size	_ZN9rocsolver6v33100L11swap_kernelIfiEEvT0_PT_S2_S4_S2_, .Lfunc_end2-_ZN9rocsolver6v33100L11swap_kernelIfiEEvT0_PT_S2_S4_S2_
                                        ; -- End function
	.set _ZN9rocsolver6v33100L11swap_kernelIfiEEvT0_PT_S2_S4_S2_.num_vgpr, 9
	.set _ZN9rocsolver6v33100L11swap_kernelIfiEEvT0_PT_S2_S4_S2_.num_agpr, 0
	.set _ZN9rocsolver6v33100L11swap_kernelIfiEEvT0_PT_S2_S4_S2_.numbered_sgpr, 14
	.set _ZN9rocsolver6v33100L11swap_kernelIfiEEvT0_PT_S2_S4_S2_.num_named_barrier, 0
	.set _ZN9rocsolver6v33100L11swap_kernelIfiEEvT0_PT_S2_S4_S2_.private_seg_size, 0
	.set _ZN9rocsolver6v33100L11swap_kernelIfiEEvT0_PT_S2_S4_S2_.uses_vcc, 1
	.set _ZN9rocsolver6v33100L11swap_kernelIfiEEvT0_PT_S2_S4_S2_.uses_flat_scratch, 0
	.set _ZN9rocsolver6v33100L11swap_kernelIfiEEvT0_PT_S2_S4_S2_.has_dyn_sized_stack, 0
	.set _ZN9rocsolver6v33100L11swap_kernelIfiEEvT0_PT_S2_S4_S2_.has_recursion, 0
	.set _ZN9rocsolver6v33100L11swap_kernelIfiEEvT0_PT_S2_S4_S2_.has_indirect_call, 0
	.section	.AMDGPU.csdata,"",@progbits
; Kernel info:
; codeLenInByte = 560
; TotalNumSgprs: 16
; NumVgprs: 9
; ScratchSize: 0
; MemoryBound: 0
; FloatMode: 240
; IeeeMode: 1
; LDSByteSize: 0 bytes/workgroup (compile time only)
; SGPRBlocks: 0
; VGPRBlocks: 1
; NumSGPRsForWavesPerEU: 16
; NumVGPRsForWavesPerEU: 9
; Occupancy: 16
; WaveLimiterHint : 0
; COMPUTE_PGM_RSRC2:SCRATCH_EN: 0
; COMPUTE_PGM_RSRC2:USER_SGPR: 6
; COMPUTE_PGM_RSRC2:TRAP_HANDLER: 0
; COMPUTE_PGM_RSRC2:TGID_X_EN: 1
; COMPUTE_PGM_RSRC2:TGID_Y_EN: 0
; COMPUTE_PGM_RSRC2:TGID_Z_EN: 0
; COMPUTE_PGM_RSRC2:TIDIG_COMP_CNT: 0
	.section	.text._ZN9rocsolver6v33100L10rot_kernelIffiEEvT1_PT0_S2_S4_S2_T_S5_,"axG",@progbits,_ZN9rocsolver6v33100L10rot_kernelIffiEEvT1_PT0_S2_S4_S2_T_S5_,comdat
	.globl	_ZN9rocsolver6v33100L10rot_kernelIffiEEvT1_PT0_S2_S4_S2_T_S5_ ; -- Begin function _ZN9rocsolver6v33100L10rot_kernelIffiEEvT1_PT0_S2_S4_S2_T_S5_
	.p2align	8
	.type	_ZN9rocsolver6v33100L10rot_kernelIffiEEvT1_PT0_S2_S4_S2_T_S5_,@function
_ZN9rocsolver6v33100L10rot_kernelIffiEEvT1_PT0_S2_S4_S2_T_S5_: ; @_ZN9rocsolver6v33100L10rot_kernelIffiEEvT1_PT0_S2_S4_S2_T_S5_
; %bb.0:
	s_load_dword s16, s[4:5], 0x0
	s_waitcnt lgkmcnt(0)
	s_cmp_lt_i32 s16, 1
	s_cbranch_scc1 .LBB3_10
; %bb.1:
	s_clause 0x5
	s_load_dword s0, s[4:5], 0x3c
	s_load_dword s1, s[4:5], 0x10
	s_load_dwordx4 s[8:11], s[4:5], 0x20
	s_load_dword s7, s[4:5], 0x30
	s_load_dwordx2 s[2:3], s[4:5], 0x8
	s_load_dwordx2 s[4:5], s[4:5], 0x18
	s_waitcnt lgkmcnt(0)
	s_and_b32 s0, s0, 0xffff
	s_cmp_eq_u32 s1, 1
	v_mad_u64_u32 v[0:1], null, s6, s0, v[0:1]
	s_cselect_b32 s11, -1, 0
	s_cmp_eq_u32 s8, 1
	s_mul_i32 s6, s7, s0
	s_cselect_b32 s12, -1, 0
	s_and_b32 s7, s11, s12
	v_cmp_gt_i32_e64 s0, s16, v0
	s_and_b32 vcc_lo, exec_lo, s7
	s_mov_b32 s7, -1
	s_cbranch_vccnz .LBB3_6
; %bb.2:
	s_and_saveexec_b32 s7, s0
	s_cbranch_execz .LBB3_5
; %bb.3:
	v_mad_i64_i32 v[1:2], null, s8, v0, 0
	v_mad_i64_i32 v[3:4], null, s1, v0, 0
	v_mov_b32_e32 v5, v0
	s_mul_hi_i32 s13, s8, s6
	s_mul_i32 s12, s8, s6
	s_mul_hi_i32 s15, s1, s6
	v_lshlrev_b64 v[1:2], 2, v[1:2]
	s_mul_i32 s14, s1, s6
	v_lshlrev_b64 v[3:4], 2, v[3:4]
	s_lshl_b64 s[12:13], s[12:13], 2
	s_lshl_b64 s[14:15], s[14:15], 2
	s_mov_b32 s8, 0
	v_add_co_u32 v1, vcc_lo, s4, v1
	v_add_co_ci_u32_e64 v2, null, s5, v2, vcc_lo
	v_add_co_u32 v3, vcc_lo, s2, v3
	v_add_co_ci_u32_e64 v4, null, s3, v4, vcc_lo
	.p2align	6
.LBB3_4:                                ; =>This Inner Loop Header: Depth=1
	global_load_dword v6, v[3:4], off
	global_load_dword v7, v[1:2], off
	v_add_nc_u32_e32 v5, s6, v5
	v_cmp_le_i32_e32 vcc_lo, s16, v5
	s_or_b32 s8, vcc_lo, s8
	s_waitcnt vmcnt(1)
	v_mul_f32_e32 v8, s10, v6
	s_waitcnt vmcnt(0)
	v_mul_f32_e32 v9, s10, v7
	v_fma_f32 v7, s9, v7, -v8
	v_fmac_f32_e32 v9, s9, v6
	global_store_dword v[1:2], v7, off
	global_store_dword v[3:4], v9, off
	v_add_co_u32 v1, s1, v1, s12
	v_add_co_ci_u32_e64 v2, null, s13, v2, s1
	v_add_co_u32 v3, s1, v3, s14
	v_add_co_ci_u32_e64 v4, null, s15, v4, s1
	s_andn2_b32 exec_lo, exec_lo, s8
	s_cbranch_execnz .LBB3_4
.LBB3_5:
	s_or_b32 exec_lo, exec_lo, s7
	s_mov_b32 s7, 0
.LBB3_6:
	s_andn2_b32 vcc_lo, exec_lo, s7
	s_cbranch_vccnz .LBB3_10
; %bb.7:
	s_and_saveexec_b32 s1, s0
	s_cbranch_execz .LBB3_10
; %bb.8:
	v_ashrrev_i32_e32 v1, 31, v0
	s_ashr_i32 s7, s6, 31
	s_mov_b32 s1, 0
	s_lshl_b64 s[12:13], s[6:7], 2
	v_lshlrev_b64 v[1:2], 2, v[0:1]
	.p2align	6
.LBB3_9:                                ; =>This Inner Loop Header: Depth=1
	v_add_co_u32 v3, vcc_lo, s4, v1
	v_add_co_ci_u32_e64 v4, null, s5, v2, vcc_lo
	v_add_co_u32 v5, vcc_lo, s2, v1
	v_add_co_ci_u32_e64 v6, null, s3, v2, vcc_lo
	global_load_dword v7, v[3:4], off
	global_load_dword v8, v[5:6], off
	v_add_nc_u32_e32 v0, s6, v0
	v_add_co_u32 v1, vcc_lo, v1, s12
	v_add_co_ci_u32_e64 v2, null, s13, v2, vcc_lo
	v_cmp_le_i32_e64 s0, s16, v0
	s_or_b32 s1, s0, s1
	s_waitcnt vmcnt(1)
	v_mul_f32_e32 v9, s10, v7
	s_waitcnt vmcnt(0)
	v_mul_f32_e32 v10, s10, v8
	v_fmac_f32_e32 v9, s9, v8
	v_fma_f32 v7, s9, v7, -v10
	global_store_dword v[3:4], v7, off
	global_store_dword v[5:6], v9, off
	s_andn2_b32 exec_lo, exec_lo, s1
	s_cbranch_execnz .LBB3_9
.LBB3_10:
	s_endpgm
	.section	.rodata,"a",@progbits
	.p2align	6, 0x0
	.amdhsa_kernel _ZN9rocsolver6v33100L10rot_kernelIffiEEvT1_PT0_S2_S4_S2_T_S5_
		.amdhsa_group_segment_fixed_size 0
		.amdhsa_private_segment_fixed_size 0
		.amdhsa_kernarg_size 304
		.amdhsa_user_sgpr_count 6
		.amdhsa_user_sgpr_private_segment_buffer 1
		.amdhsa_user_sgpr_dispatch_ptr 0
		.amdhsa_user_sgpr_queue_ptr 0
		.amdhsa_user_sgpr_kernarg_segment_ptr 1
		.amdhsa_user_sgpr_dispatch_id 0
		.amdhsa_user_sgpr_flat_scratch_init 0
		.amdhsa_user_sgpr_private_segment_size 0
		.amdhsa_wavefront_size32 1
		.amdhsa_uses_dynamic_stack 0
		.amdhsa_system_sgpr_private_segment_wavefront_offset 0
		.amdhsa_system_sgpr_workgroup_id_x 1
		.amdhsa_system_sgpr_workgroup_id_y 0
		.amdhsa_system_sgpr_workgroup_id_z 0
		.amdhsa_system_sgpr_workgroup_info 0
		.amdhsa_system_vgpr_workitem_id 0
		.amdhsa_next_free_vgpr 11
		.amdhsa_next_free_sgpr 17
		.amdhsa_reserve_vcc 1
		.amdhsa_reserve_flat_scratch 0
		.amdhsa_float_round_mode_32 0
		.amdhsa_float_round_mode_16_64 0
		.amdhsa_float_denorm_mode_32 3
		.amdhsa_float_denorm_mode_16_64 3
		.amdhsa_dx10_clamp 1
		.amdhsa_ieee_mode 1
		.amdhsa_fp16_overflow 0
		.amdhsa_workgroup_processor_mode 1
		.amdhsa_memory_ordered 1
		.amdhsa_forward_progress 1
		.amdhsa_shared_vgpr_count 0
		.amdhsa_exception_fp_ieee_invalid_op 0
		.amdhsa_exception_fp_denorm_src 0
		.amdhsa_exception_fp_ieee_div_zero 0
		.amdhsa_exception_fp_ieee_overflow 0
		.amdhsa_exception_fp_ieee_underflow 0
		.amdhsa_exception_fp_ieee_inexact 0
		.amdhsa_exception_int_div_zero 0
	.end_amdhsa_kernel
	.section	.text._ZN9rocsolver6v33100L10rot_kernelIffiEEvT1_PT0_S2_S4_S2_T_S5_,"axG",@progbits,_ZN9rocsolver6v33100L10rot_kernelIffiEEvT1_PT0_S2_S4_S2_T_S5_,comdat
.Lfunc_end3:
	.size	_ZN9rocsolver6v33100L10rot_kernelIffiEEvT1_PT0_S2_S4_S2_T_S5_, .Lfunc_end3-_ZN9rocsolver6v33100L10rot_kernelIffiEEvT1_PT0_S2_S4_S2_T_S5_
                                        ; -- End function
	.set _ZN9rocsolver6v33100L10rot_kernelIffiEEvT1_PT0_S2_S4_S2_T_S5_.num_vgpr, 11
	.set _ZN9rocsolver6v33100L10rot_kernelIffiEEvT1_PT0_S2_S4_S2_T_S5_.num_agpr, 0
	.set _ZN9rocsolver6v33100L10rot_kernelIffiEEvT1_PT0_S2_S4_S2_T_S5_.numbered_sgpr, 17
	.set _ZN9rocsolver6v33100L10rot_kernelIffiEEvT1_PT0_S2_S4_S2_T_S5_.num_named_barrier, 0
	.set _ZN9rocsolver6v33100L10rot_kernelIffiEEvT1_PT0_S2_S4_S2_T_S5_.private_seg_size, 0
	.set _ZN9rocsolver6v33100L10rot_kernelIffiEEvT1_PT0_S2_S4_S2_T_S5_.uses_vcc, 1
	.set _ZN9rocsolver6v33100L10rot_kernelIffiEEvT1_PT0_S2_S4_S2_T_S5_.uses_flat_scratch, 0
	.set _ZN9rocsolver6v33100L10rot_kernelIffiEEvT1_PT0_S2_S4_S2_T_S5_.has_dyn_sized_stack, 0
	.set _ZN9rocsolver6v33100L10rot_kernelIffiEEvT1_PT0_S2_S4_S2_T_S5_.has_recursion, 0
	.set _ZN9rocsolver6v33100L10rot_kernelIffiEEvT1_PT0_S2_S4_S2_T_S5_.has_indirect_call, 0
	.section	.AMDGPU.csdata,"",@progbits
; Kernel info:
; codeLenInByte = 584
; TotalNumSgprs: 19
; NumVgprs: 11
; ScratchSize: 0
; MemoryBound: 0
; FloatMode: 240
; IeeeMode: 1
; LDSByteSize: 0 bytes/workgroup (compile time only)
; SGPRBlocks: 0
; VGPRBlocks: 1
; NumSGPRsForWavesPerEU: 19
; NumVGPRsForWavesPerEU: 11
; Occupancy: 16
; WaveLimiterHint : 0
; COMPUTE_PGM_RSRC2:SCRATCH_EN: 0
; COMPUTE_PGM_RSRC2:USER_SGPR: 6
; COMPUTE_PGM_RSRC2:TRAP_HANDLER: 0
; COMPUTE_PGM_RSRC2:TGID_X_EN: 1
; COMPUTE_PGM_RSRC2:TGID_Y_EN: 0
; COMPUTE_PGM_RSRC2:TGID_Z_EN: 0
; COMPUTE_PGM_RSRC2:TIDIG_COMP_CNT: 0
	.section	.text._ZN9rocsolver6v33100L11lasr_kernelIffPfiEEv13rocblas_side_14rocblas_pivot_15rocblas_direct_T2_S6_PT0_lS8_lT1_lS6_lS6_,"axG",@progbits,_ZN9rocsolver6v33100L11lasr_kernelIffPfiEEv13rocblas_side_14rocblas_pivot_15rocblas_direct_T2_S6_PT0_lS8_lT1_lS6_lS6_,comdat
	.globl	_ZN9rocsolver6v33100L11lasr_kernelIffPfiEEv13rocblas_side_14rocblas_pivot_15rocblas_direct_T2_S6_PT0_lS8_lT1_lS6_lS6_ ; -- Begin function _ZN9rocsolver6v33100L11lasr_kernelIffPfiEEv13rocblas_side_14rocblas_pivot_15rocblas_direct_T2_S6_PT0_lS8_lT1_lS6_lS6_
	.p2align	8
	.type	_ZN9rocsolver6v33100L11lasr_kernelIffPfiEEv13rocblas_side_14rocblas_pivot_15rocblas_direct_T2_S6_PT0_lS8_lT1_lS6_lS6_,@function
_ZN9rocsolver6v33100L11lasr_kernelIffPfiEEv13rocblas_side_14rocblas_pivot_15rocblas_direct_T2_S6_PT0_lS8_lT1_lS6_lS6_: ; @_ZN9rocsolver6v33100L11lasr_kernelIffPfiEEv13rocblas_side_14rocblas_pivot_15rocblas_direct_T2_S6_PT0_lS8_lT1_lS6_lS6_
; %bb.0:
	s_load_dword s33, s[4:5], 0x58
	s_waitcnt lgkmcnt(0)
	s_cmp_ge_u32 s7, s33
	s_cbranch_scc1 .LBB4_108
; %bb.1:
	s_clause 0x6
	s_load_dword s20, s[4:5], 0x48
	s_load_dwordx4 s[16:19], s[4:5], 0x38
	s_load_dwordx2 s[22:23], s[4:5], 0x68
	s_load_dwordx4 s[0:3], s[4:5], 0x0
	s_load_dword s24, s[4:5], 0x60
	s_load_dword s56, s[4:5], 0x10
	s_load_dwordx8 s[8:15], s[4:5], 0x18
	v_mov_b32_e32 v34, 0
	s_waitcnt lgkmcnt(0)
	s_ashr_i32 s21, s20, 31
	s_lshl_b64 s[38:39], s[18:19], 2
	s_and_b32 s25, s23, 0xffff
	s_add_u32 s23, s16, s38
	s_addc_u32 s57, s17, s39
	s_cmpk_eq_i32 s0, 0x8d
	s_load_dwordx2 s[18:19], s[4:5], 0x50
	s_cselect_b32 s26, -1, 0
	s_cmpk_eq_i32 s0, 0x8e
	v_mad_u64_u32 v[0:1], null, s6, s25, v[0:1]
	s_cselect_b32 s27, -1, 0
	s_cmpk_eq_i32 s1, 0x119
	s_mul_i32 s4, s24, s25
	s_cselect_b32 s0, -1, 0
	s_cmpk_eq_i32 s1, 0x11b
	s_cselect_b32 s28, -1, 0
	s_cmpk_eq_i32 s1, 0x11a
	v_ashrrev_i32_e32 v1, 31, v0
	s_cselect_b32 s1, -1, 0
	s_cmpk_eq_i32 s2, 0xab
	v_mad_i64_i32 v[3:4], null, s20, v0, 0
	s_cselect_b32 s5, -1, 0
	s_cmpk_eq_i32 s2, 0xac
	v_lshlrev_b64 v[1:2], 2, v[0:1]
	s_cselect_b32 s2, -1, 0
	s_and_b32 s24, s26, s1
	s_and_b32 s6, s26, s0
	;; [unrolled: 1-line block ×7, first 2 shown]
	s_xor_b32 s60, s24, -1
	s_and_b32 s24, s25, s2
	s_and_b32 s25, s0, s5
	;; [unrolled: 1-line block ×4, first 2 shown]
	s_xor_b32 s64, s0, -1
	v_cmp_gt_i32_e64 s0, s3, v0
	s_xor_b32 s62, s24, -1
	s_and_b32 s24, s1, s5
	s_and_b32 s1, s1, s2
	s_xor_b32 s65, s24, -1
	s_and_b32 s24, s27, s28
	s_and_b32 s26, s6, s5
	;; [unrolled: 1-line block ×3, first 2 shown]
	s_xor_b32 s66, s1, -1
	s_and_b32 s1, s24, s5
	s_and_b32 s2, s2, s0
	s_xor_b32 s6, s26, -1
	s_xor_b32 s58, s29, -1
	;; [unrolled: 1-line block ×6, first 2 shown]
	s_and_b32 s68, s24, s2
	s_add_i32 s69, s56, -1
	s_add_i32 s24, s56, -2
	s_cmp_gt_i32 s56, 1
	s_mov_b32 s25, 0
	s_cselect_b32 s70, -1, 0
	s_ashr_i32 s29, s3, 31
	s_add_i32 s40, s3, -2
	s_cmp_gt_i32 s3, 1
	s_mul_i32 s2, s21, s24
	s_cselect_b32 s71, -1, 0
	s_lshl_b64 s[30:31], s[24:25], 2
	s_mul_hi_u32 s5, s20, s24
	s_add_u32 s72, s8, s30
	s_addc_u32 s73, s9, s31
	s_lshl_b64 s[10:11], s[10:11], 2
	s_add_u32 s74, s12, s30
	s_addc_u32 s75, s13, s31
	s_add_i32 s31, s5, s2
	s_mul_i32 s30, s20, s24
	s_lshl_b64 s[14:15], s[14:15], 2
	s_lshl_b64 s[30:31], s[30:31], 2
	s_mul_i32 s26, s20, s69
	s_add_u32 s2, s30, s38
	s_addc_u32 s5, s31, s39
	s_add_u32 s2, s16, s2
	s_addc_u32 s5, s17, s5
	v_add_co_u32 v16, vcc_lo, s2, v1
	v_add_co_ci_u32_e64 v17, null, s5, v2, vcc_lo
	s_ashr_i32 s5, s4, 31
	s_lshl_b64 s[34:35], s[20:21], 2
	s_waitcnt lgkmcnt(0)
	s_lshl_b64 s[30:31], s[18:19], 2
	s_lshl_b64 s[36:37], s[4:5], 2
	s_mul_i32 s2, s21, s69
	s_mul_hi_u32 s24, s20, s69
	s_sub_u32 s5, 0, s34
	s_subb_u32 s21, 0, s35
	s_add_i32 s43, s24, s2
	s_mov_b32 s42, s26
	s_add_i32 s76, s56, 1
	s_lshl_b64 s[42:43], s[42:43], 2
	v_add_co_u32 v18, vcc_lo, s23, v1
	s_add_u32 s2, s42, s38
	s_addc_u32 s24, s43, s39
	s_add_u32 s2, s16, s2
	v_add_co_ci_u32_e64 v19, null, s57, v2, vcc_lo
	s_addc_u32 s24, s17, s24
	v_add_co_u32 v20, vcc_lo, s2, v1
	s_add_u32 s2, s38, s34
	v_add_co_ci_u32_e64 v21, null, s24, v2, vcc_lo
	s_addc_u32 s24, s39, s35
	s_add_u32 s2, s16, s2
	s_addc_u32 s24, s17, s24
	v_add_co_u32 v22, vcc_lo, s2, v1
	v_add_co_ci_u32_e64 v23, null, s24, v2, vcc_lo
	v_lshlrev_b64 v[1:2], 2, v[3:4]
	s_mov_b32 s41, s25
	s_add_i32 s24, s3, -1
	s_lshl_b64 s[40:41], s[40:41], 2
	v_cmp_gt_i32_e64 s1, s56, v0
	s_add_u32 s77, s8, s40
	s_addc_u32 s78, s9, s41
	v_add_co_u32 v1, vcc_lo, v1, s38
	s_add_u32 s79, s12, s40
	s_addc_u32 s80, s13, s41
	v_add_co_ci_u32_e64 v2, null, s39, v2, vcc_lo
	s_add_u32 s2, s16, s40
	s_addc_u32 s27, s17, s41
	s_mul_hi_i32 s39, s20, s4
	s_mul_i32 s38, s20, s4
	v_add_co_u32 v24, vcc_lo, s2, v1
	s_lshl_b64 s[40:41], s[24:25], 2
	v_add_co_ci_u32_e64 v25, null, s27, v2, vcc_lo
	s_lshl_b64 s[38:39], s[38:39], 2
	v_add_co_u32 v26, vcc_lo, s16, v1
	s_add_i32 s25, s3, 1
	s_add_u32 s2, s16, s40
	v_add_co_ci_u32_e64 v27, null, s17, v2, vcc_lo
	s_addc_u32 s16, s17, s41
	v_add_co_u32 v28, vcc_lo, s2, v1
	v_add_co_ci_u32_e64 v29, null, s16, v2, vcc_lo
	v_add_co_u32 v30, vcc_lo, v26, 4
	v_add_co_ci_u32_e64 v31, null, 0, v27, vcc_lo
	;; [unrolled: 2-line block ×3, first 2 shown]
	s_mul_hi_i32 s27, s20, s69
	s_mov_b32 s28, s3
	s_branch .LBB4_4
.LBB4_2:                                ;   in Loop: Header=BB4_4 Depth=1
	s_or_b32 exec_lo, exec_lo, s46
.LBB4_3:                                ;   in Loop: Header=BB4_4 Depth=1
	s_add_i32 s7, s7, s22
	s_cmp_ge_u32 s7, s33
	s_cbranch_scc1 .LBB4_108
.LBB4_4:                                ; =>This Loop Header: Depth=1
                                        ;     Child Loop BB4_19 Depth 2
                                        ;       Child Loop BB4_20 Depth 3
                                        ;     Child Loop BB4_26 Depth 2
                                        ;       Child Loop BB4_27 Depth 3
                                        ;     Child Loop BB4_34 Depth 2
                                        ;       Child Loop BB4_35 Depth 3
                                        ;     Child Loop BB4_42 Depth 2
                                        ;       Child Loop BB4_43 Depth 3
                                        ;     Child Loop BB4_50 Depth 2
                                        ;       Child Loop BB4_52 Depth 3
                                        ;     Child Loop BB4_59 Depth 2
                                        ;       Child Loop BB4_60 Depth 3
                                        ;     Child Loop BB4_67 Depth 2
                                        ;       Child Loop BB4_68 Depth 3
                                        ;     Child Loop BB4_75 Depth 2
                                        ;       Child Loop BB4_76 Depth 3
                                        ;     Child Loop BB4_83 Depth 2
                                        ;       Child Loop BB4_84 Depth 3
                                        ;     Child Loop BB4_91 Depth 2
                                        ;       Child Loop BB4_92 Depth 3
                                        ;     Child Loop BB4_99 Depth 2
                                        ;       Child Loop BB4_100 Depth 3
                                        ;     Child Loop BB4_106 Depth 2
                                        ;       Child Loop BB4_107 Depth 3
	s_mul_i32 s2, s31, s7
	s_mul_hi_u32 s16, s30, s7
	s_mul_hi_u32 s17, s10, s7
	s_add_i32 s83, s16, s2
	s_mul_i32 s16, s11, s7
	s_mul_i32 s2, s10, s7
	s_add_i32 s47, s17, s16
	s_mul_i32 s40, s15, s7
	s_mul_hi_u32 s41, s14, s7
	s_add_u32 s16, s8, s2
	s_mul_i32 s48, s14, s7
	s_addc_u32 s17, s9, s47
	s_add_i32 s49, s41, s40
	s_mul_i32 s42, s19, s7
	s_mul_hi_u32 s43, s18, s7
	s_mul_i32 s84, s30, s7
	s_add_u32 s40, s12, s48
	s_addc_u32 s41, s13, s49
	s_add_i32 s43, s43, s42
	s_mul_i32 s42, s18, s7
	v_add_co_u32 v1, vcc_lo, v30, s84
	s_lshl_b64 s[42:43], s[42:43], 2
	v_add_co_ci_u32_e64 v2, null, s83, v31, vcc_lo
	s_add_u32 s81, s23, s42
	s_addc_u32 s82, s57, s43
	s_and_b32 vcc_lo, exec_lo, s6
	s_mov_b32 s42, -1
	s_cbranch_vccnz .LBB4_6
; %bb.5:                                ;   in Loop: Header=BB4_4 Depth=1
	s_andn2_b32 vcc_lo, exec_lo, s42
	s_cbranch_vccnz .LBB4_3
	s_branch .LBB4_103
.LBB4_6:                                ;   in Loop: Header=BB4_4 Depth=1
	s_add_u32 s42, s77, s2
	s_addc_u32 s43, s78, s47
	s_add_u32 s44, s79, s48
	s_addc_u32 s45, s80, s49
	s_and_b32 vcc_lo, exec_lo, s58
	s_mov_b32 s46, -1
	s_cbranch_vccz .LBB4_95
; %bb.7:                                ;   in Loop: Header=BB4_4 Depth=1
	s_and_b32 vcc_lo, exec_lo, s59
	s_cbranch_vccz .LBB4_87
; %bb.8:                                ;   in Loop: Header=BB4_4 Depth=1
	s_and_b32 vcc_lo, exec_lo, s60
	;; [unrolled: 3-line block ×3, first 2 shown]
	s_cbranch_vccz .LBB4_71
; %bb.10:                               ;   in Loop: Header=BB4_4 Depth=1
	s_and_b32 vcc_lo, exec_lo, s62
	s_cbranch_vccz .LBB4_63
; %bb.11:                               ;   in Loop: Header=BB4_4 Depth=1
	v_add_co_u32 v3, vcc_lo, v18, s84
	v_add_co_ci_u32_e64 v4, null, s83, v19, vcc_lo
	s_and_b32 vcc_lo, exec_lo, s63
	s_cbranch_vccz .LBB4_55
; %bb.12:                               ;   in Loop: Header=BB4_4 Depth=1
	v_add_co_u32 v5, vcc_lo, v20, s84
	v_add_co_ci_u32_e64 v6, null, s83, v21, vcc_lo
	v_add_co_u32 v7, vcc_lo, v16, s84
	s_add_u32 s46, s72, s2
	v_add_co_ci_u32_e64 v8, null, s83, v17, vcc_lo
	s_addc_u32 s47, s73, s47
	s_add_u32 s48, s74, s48
	s_addc_u32 s49, s75, s49
	s_and_b32 vcc_lo, exec_lo, s64
	s_mov_b32 s2, -1
	s_cbranch_vccz .LBB4_46
; %bb.13:                               ;   in Loop: Header=BB4_4 Depth=1
	s_and_b32 vcc_lo, exec_lo, s65
	s_cbranch_vccz .LBB4_38
; %bb.14:                               ;   in Loop: Header=BB4_4 Depth=1
	s_and_b32 vcc_lo, exec_lo, s66
	;; [unrolled: 3-line block ×3, first 2 shown]
	s_cbranch_vccz .LBB4_22
; %bb.16:                               ;   in Loop: Header=BB4_4 Depth=1
	s_and_saveexec_b32 s54, s68
	s_cbranch_execz .LBB4_21
; %bb.17:                               ;   in Loop: Header=BB4_4 Depth=1
	v_mov_b32_e32 v10, v8
	s_lshl_b64 s[50:51], s[26:27], 2
	v_mov_b32_e32 v9, v7
	v_mov_b32_e32 v11, v0
	s_add_u32 s55, s81, s50
	s_addc_u32 s85, s82, s51
	s_mov_b32 s86, 0
	s_branch .LBB4_19
.LBB4_18:                               ;   in Loop: Header=BB4_19 Depth=2
	v_add_nc_u32_e32 v11, s4, v11
	v_add_co_u32 v9, s2, v9, s36
	v_add_co_ci_u32_e64 v10, null, s37, v10, s2
	v_cmp_le_i32_e32 vcc_lo, s3, v11
	s_waitcnt vmcnt(0)
	global_store_dword v[12:13], v35, off
	s_or_b32 s86, vcc_lo, s86
	s_andn2_b32 exec_lo, exec_lo, s86
	s_cbranch_execz .LBB4_21
.LBB4_19:                               ;   Parent Loop BB4_4 Depth=1
                                        ; =>  This Loop Header: Depth=2
                                        ;       Child Loop BB4_20 Depth 3
	v_ashrrev_i32_e32 v12, 31, v11
	v_mov_b32_e32 v15, v10
	v_mov_b32_e32 v14, v9
	s_mov_b64 s[50:51], s[48:49]
	s_mov_b64 s[52:53], s[46:47]
	v_lshlrev_b64 v[12:13], 2, v[11:12]
	s_mov_b32 s2, s69
	v_add_co_u32 v12, vcc_lo, s55, v12
	v_add_co_ci_u32_e64 v13, null, s85, v13, vcc_lo
	s_andn2_b32 vcc_lo, exec_lo, s70
	global_load_dword v35, v[12:13], off
	s_cbranch_vccnz .LBB4_18
	.p2align	6
.LBB4_20:                               ;   Parent Loop BB4_4 Depth=1
                                        ;     Parent Loop BB4_19 Depth=2
                                        ; =>    This Inner Loop Header: Depth=3
	global_load_dword v36, v[14:15], off
	s_clause 0x1
	global_load_dword v37, v34, s[52:53]
	global_load_dword v38, v34, s[50:51]
	s_add_i32 s2, s2, -1
	s_add_u32 s52, s52, -4
	s_addc_u32 s53, s53, -1
	s_add_u32 s50, s50, -4
	s_addc_u32 s51, s51, -1
	s_cmp_eq_u32 s2, 0
	s_waitcnt vmcnt(1)
	v_mul_f32_e32 v39, v37, v36
	s_waitcnt vmcnt(0)
	v_mul_f32_e32 v36, v38, v36
	v_fmac_f32_e32 v39, v35, v38
	v_fma_f32 v35, v35, v37, -v36
	global_store_dword v[14:15], v39, off
	v_add_co_u32 v14, vcc_lo, v14, s5
	v_add_co_ci_u32_e64 v15, null, s21, v15, vcc_lo
	s_cbranch_scc0 .LBB4_20
	s_branch .LBB4_18
.LBB4_21:                               ;   in Loop: Header=BB4_4 Depth=1
	s_or_b32 exec_lo, exec_lo, s54
	s_mov_b32 s2, 0
.LBB4_22:                               ;   in Loop: Header=BB4_4 Depth=1
	s_andn2_b32 vcc_lo, exec_lo, s2
	s_cbranch_vccnz .LBB4_29
; %bb.23:                               ;   in Loop: Header=BB4_4 Depth=1
	s_and_saveexec_b32 s54, s0
	s_cbranch_execz .LBB4_28
; %bb.24:                               ;   in Loop: Header=BB4_4 Depth=1
	v_mov_b32_e32 v10, v4
	s_lshl_b64 s[50:51], s[26:27], 2
	v_mov_b32_e32 v9, v3
	v_mov_b32_e32 v11, v0
	s_add_u32 s55, s81, s50
	s_addc_u32 s85, s82, s51
	s_mov_b32 s86, 0
	s_branch .LBB4_26
.LBB4_25:                               ;   in Loop: Header=BB4_26 Depth=2
	v_add_nc_u32_e32 v11, s4, v11
	v_add_co_u32 v9, s2, v9, s36
	v_add_co_ci_u32_e64 v10, null, s37, v10, s2
	v_cmp_le_i32_e32 vcc_lo, s3, v11
	s_waitcnt vmcnt(0)
	global_store_dword v[12:13], v35, off
	s_or_b32 s86, vcc_lo, s86
	s_andn2_b32 exec_lo, exec_lo, s86
	s_cbranch_execz .LBB4_28
.LBB4_26:                               ;   Parent Loop BB4_4 Depth=1
                                        ; =>  This Loop Header: Depth=2
                                        ;       Child Loop BB4_27 Depth 3
	v_ashrrev_i32_e32 v12, 31, v11
	v_mov_b32_e32 v15, v10
	v_mov_b32_e32 v14, v9
	s_mov_b64 s[50:51], s[40:41]
	s_mov_b64 s[52:53], s[16:17]
	v_lshlrev_b64 v[12:13], 2, v[11:12]
	s_mov_b32 s2, s69
	v_add_co_u32 v12, vcc_lo, s55, v12
	v_add_co_ci_u32_e64 v13, null, s85, v13, vcc_lo
	s_andn2_b32 vcc_lo, exec_lo, s70
	global_load_dword v35, v[12:13], off
	s_cbranch_vccnz .LBB4_25
	.p2align	6
.LBB4_27:                               ;   Parent Loop BB4_4 Depth=1
                                        ;     Parent Loop BB4_26 Depth=2
                                        ; =>    This Inner Loop Header: Depth=3
	global_load_dword v36, v[14:15], off
	s_clause 0x1
	global_load_dword v37, v34, s[52:53]
	global_load_dword v38, v34, s[50:51]
	s_add_i32 s2, s2, -1
	s_add_u32 s52, s52, 4
	s_addc_u32 s53, s53, 0
	s_add_u32 s50, s50, 4
	s_addc_u32 s51, s51, 0
	s_cmp_eq_u32 s2, 0
	s_waitcnt vmcnt(1)
	v_mul_f32_e32 v39, v37, v36
	s_waitcnt vmcnt(0)
	v_mul_f32_e32 v36, v38, v36
	v_fmac_f32_e32 v39, v35, v38
	v_fma_f32 v35, v35, v37, -v36
	global_store_dword v[14:15], v39, off
	v_add_co_u32 v14, vcc_lo, v14, s34
	v_add_co_ci_u32_e64 v15, null, s35, v15, vcc_lo
	s_cbranch_scc0 .LBB4_27
	s_branch .LBB4_25
.LBB4_28:                               ;   in Loop: Header=BB4_4 Depth=1
	s_or_b32 exec_lo, exec_lo, s54
.LBB4_29:                               ;   in Loop: Header=BB4_4 Depth=1
	s_mov_b32 s2, 0
.LBB4_30:                               ;   in Loop: Header=BB4_4 Depth=1
	s_andn2_b32 vcc_lo, exec_lo, s2
	s_cbranch_vccnz .LBB4_37
; %bb.31:                               ;   in Loop: Header=BB4_4 Depth=1
	s_and_saveexec_b32 s54, s0
	s_cbranch_execz .LBB4_36
; %bb.32:                               ;   in Loop: Header=BB4_4 Depth=1
	v_mov_b32_e32 v10, v6
	v_mov_b32_e32 v9, v5
	v_mov_b32_e32 v11, v0
	s_mov_b32 s55, 0
	s_branch .LBB4_34
.LBB4_33:                               ;   in Loop: Header=BB4_34 Depth=2
	v_add_nc_u32_e32 v11, s4, v11
	v_add_co_u32 v9, s2, v9, s36
	v_add_co_ci_u32_e64 v10, null, s37, v10, s2
	v_cmp_le_i32_e32 vcc_lo, s3, v11
	s_waitcnt vmcnt(0)
	global_store_dword v[12:13], v35, off
	s_or_b32 s55, vcc_lo, s55
	s_andn2_b32 exec_lo, exec_lo, s55
	s_cbranch_execz .LBB4_36
.LBB4_34:                               ;   Parent Loop BB4_4 Depth=1
                                        ; =>  This Loop Header: Depth=2
                                        ;       Child Loop BB4_35 Depth 3
	v_ashrrev_i32_e32 v12, 31, v11
	v_mov_b32_e32 v15, v10
	v_mov_b32_e32 v14, v9
	s_mov_b64 s[50:51], s[48:49]
	s_mov_b64 s[52:53], s[46:47]
	v_lshlrev_b64 v[12:13], 2, v[11:12]
	s_mov_b32 s2, s76
	v_add_co_u32 v12, vcc_lo, s81, v12
	v_add_co_ci_u32_e64 v13, null, s82, v13, vcc_lo
	s_andn2_b32 vcc_lo, exec_lo, s70
	global_load_dword v35, v[12:13], off
	s_cbranch_vccnz .LBB4_33
	.p2align	6
.LBB4_35:                               ;   Parent Loop BB4_4 Depth=1
                                        ;     Parent Loop BB4_34 Depth=2
                                        ; =>    This Inner Loop Header: Depth=3
	s_clause 0x1
	global_load_dword v36, v34, s[50:51]
	global_load_dword v37, v34, s[52:53]
	global_load_dword v38, v[14:15], off
	s_waitcnt vmcnt(3)
	v_mov_b32_e32 v39, v35
	s_add_i32 s2, s2, -1
	s_add_u32 s52, s52, -4
	s_addc_u32 s53, s53, -1
	s_add_u32 s50, s50, -4
	s_addc_u32 s51, s51, -1
	s_cmp_lt_u32 s2, 3
	s_waitcnt vmcnt(2)
	v_mul_f32_e32 v40, v39, v36
	s_waitcnt vmcnt(0)
	v_mul_f32_e32 v35, v36, v38
	v_fma_f32 v36, v37, v38, -v40
	v_fmac_f32_e32 v35, v39, v37
	global_store_dword v[14:15], v36, off
	v_add_co_u32 v14, vcc_lo, v14, s5
	v_add_co_ci_u32_e64 v15, null, s21, v15, vcc_lo
	s_cbranch_scc0 .LBB4_35
	s_branch .LBB4_33
.LBB4_36:                               ;   in Loop: Header=BB4_4 Depth=1
	s_or_b32 exec_lo, exec_lo, s54
.LBB4_37:                               ;   in Loop: Header=BB4_4 Depth=1
	s_mov_b32 s2, 0
.LBB4_38:                               ;   in Loop: Header=BB4_4 Depth=1
	s_andn2_b32 vcc_lo, exec_lo, s2
	s_cbranch_vccnz .LBB4_45
; %bb.39:                               ;   in Loop: Header=BB4_4 Depth=1
	s_and_saveexec_b32 s54, s0
	s_cbranch_execz .LBB4_44
; %bb.40:                               ;   in Loop: Header=BB4_4 Depth=1
	v_add_co_u32 v9, vcc_lo, v22, s84
	v_add_co_ci_u32_e64 v10, null, s83, v23, vcc_lo
	v_mov_b32_e32 v11, v0
	s_mov_b32 s55, 0
	s_branch .LBB4_42
.LBB4_41:                               ;   in Loop: Header=BB4_42 Depth=2
	v_add_nc_u32_e32 v11, s4, v11
	v_add_co_u32 v9, s2, v9, s36
	v_add_co_ci_u32_e64 v10, null, s37, v10, s2
	v_cmp_le_i32_e32 vcc_lo, s3, v11
	s_waitcnt vmcnt(0)
	global_store_dword v[12:13], v35, off
	s_or_b32 s55, vcc_lo, s55
	s_andn2_b32 exec_lo, exec_lo, s55
	s_cbranch_execz .LBB4_44
.LBB4_42:                               ;   Parent Loop BB4_4 Depth=1
                                        ; =>  This Loop Header: Depth=2
                                        ;       Child Loop BB4_43 Depth 3
	v_ashrrev_i32_e32 v12, 31, v11
	v_mov_b32_e32 v15, v10
	v_mov_b32_e32 v14, v9
	s_mov_b32 s2, s69
	s_mov_b64 s[50:51], s[16:17]
	v_lshlrev_b64 v[12:13], 2, v[11:12]
	s_mov_b64 s[52:53], s[40:41]
	v_add_co_u32 v12, vcc_lo, s81, v12
	v_add_co_ci_u32_e64 v13, null, s82, v13, vcc_lo
	s_andn2_b32 vcc_lo, exec_lo, s70
	global_load_dword v35, v[12:13], off
	s_cbranch_vccnz .LBB4_41
	.p2align	6
.LBB4_43:                               ;   Parent Loop BB4_4 Depth=1
                                        ;     Parent Loop BB4_42 Depth=2
                                        ; =>    This Inner Loop Header: Depth=3
	s_clause 0x1
	global_load_dword v36, v34, s[52:53]
	global_load_dword v37, v34, s[50:51]
	global_load_dword v38, v[14:15], off
	s_waitcnt vmcnt(3)
	v_mov_b32_e32 v39, v35
	s_add_u32 s52, s52, 4
	s_addc_u32 s53, s53, 0
	s_add_u32 s50, s50, 4
	s_addc_u32 s51, s51, 0
	s_add_i32 s2, s2, -1
	s_cmp_eq_u32 s2, 0
	s_waitcnt vmcnt(2)
	v_mul_f32_e32 v40, v39, v36
	s_waitcnt vmcnt(0)
	v_mul_f32_e32 v35, v36, v38
	v_fma_f32 v36, v37, v38, -v40
	v_fmac_f32_e32 v35, v39, v37
	global_store_dword v[14:15], v36, off
	v_add_co_u32 v14, vcc_lo, v14, s34
	v_add_co_ci_u32_e64 v15, null, s35, v15, vcc_lo
	s_cbranch_scc0 .LBB4_43
	s_branch .LBB4_41
.LBB4_44:                               ;   in Loop: Header=BB4_4 Depth=1
	s_or_b32 exec_lo, exec_lo, s54
.LBB4_45:                               ;   in Loop: Header=BB4_4 Depth=1
	s_mov_b32 s2, 0
.LBB4_46:                               ;   in Loop: Header=BB4_4 Depth=1
	s_andn2_b32 vcc_lo, exec_lo, s2
	s_cbranch_vccnz .LBB4_54
; %bb.47:                               ;   in Loop: Header=BB4_4 Depth=1
	s_and_saveexec_b32 s85, s0
	s_cbranch_execz .LBB4_53
; %bb.48:                               ;   in Loop: Header=BB4_4 Depth=1
	s_lshl_b64 s[50:51], s[26:27], 2
	v_mov_b32_e32 v9, v0
	s_add_u32 s86, s81, s50
	s_addc_u32 s87, s82, s51
	s_mov_b32 s88, 0
	s_branch .LBB4_50
.LBB4_49:                               ;   in Loop: Header=BB4_50 Depth=2
	v_add_nc_u32_e32 v9, s4, v9
	v_add_co_u32 v10, vcc_lo, s81, v10
	v_add_co_ci_u32_e64 v11, null, s82, v11, vcc_lo
	v_add_co_u32 v5, vcc_lo, v5, s36
	v_add_co_ci_u32_e64 v6, null, s37, v6, vcc_lo
	v_cmp_le_i32_e32 vcc_lo, s3, v9
	v_add_co_u32 v7, s2, v7, s36
	v_add_co_ci_u32_e64 v8, null, s37, v8, s2
	s_or_b32 s88, vcc_lo, s88
	s_waitcnt vmcnt(0)
	global_store_dword v[10:11], v12, off
	s_andn2_b32 exec_lo, exec_lo, s88
	s_cbranch_execz .LBB4_53
.LBB4_50:                               ;   Parent Loop BB4_4 Depth=1
                                        ; =>  This Loop Header: Depth=2
                                        ;       Child Loop BB4_52 Depth 3
	v_ashrrev_i32_e32 v10, 31, v9
	v_lshlrev_b64 v[10:11], 2, v[9:10]
	v_add_co_u32 v12, vcc_lo, s86, v10
	v_add_co_ci_u32_e64 v13, null, s87, v11, vcc_lo
	s_andn2_b32 vcc_lo, exec_lo, s70
	global_load_dword v12, v[12:13], off
	s_cbranch_vccnz .LBB4_49
; %bb.51:                               ;   in Loop: Header=BB4_50 Depth=2
	s_mov_b64 s[50:51], 0
	s_mov_b64 s[52:53], s[48:49]
	;; [unrolled: 1-line block ×3, first 2 shown]
	s_mov_b32 s2, s69
	.p2align	6
.LBB4_52:                               ;   Parent Loop BB4_4 Depth=1
                                        ;     Parent Loop BB4_50 Depth=2
                                        ; =>    This Inner Loop Header: Depth=3
	v_add_co_u32 v13, vcc_lo, v7, s50
	v_add_co_ci_u32_e64 v14, null, s51, v8, vcc_lo
	s_waitcnt vmcnt(0)
	v_mov_b32_e32 v37, v12
	s_clause 0x1
	global_load_dword v15, v34, s[54:55]
	global_load_dword v35, v34, s[52:53]
	global_load_dword v36, v[13:14], off
	v_add_co_u32 v13, vcc_lo, v5, s50
	s_add_i32 s2, s2, -1
	s_sub_u32 s50, s50, s34
	v_add_co_ci_u32_e64 v14, null, s51, v6, vcc_lo
	s_subb_u32 s51, s51, s35
	s_add_u32 s54, s54, -4
	s_addc_u32 s55, s55, -1
	s_add_u32 s52, s52, -4
	s_addc_u32 s53, s53, -1
	s_cmp_eq_u32 s2, 0
	s_waitcnt vmcnt(0)
	v_mul_f32_e32 v38, v35, v36
	v_mul_f32_e32 v12, v15, v36
	v_fma_f32 v15, v37, v15, -v38
	v_fmac_f32_e32 v12, v37, v35
	global_store_dword v[13:14], v15, off
	s_cbranch_scc0 .LBB4_52
	s_branch .LBB4_49
.LBB4_53:                               ;   in Loop: Header=BB4_4 Depth=1
	s_or_b32 exec_lo, exec_lo, s85
.LBB4_54:                               ;   in Loop: Header=BB4_4 Depth=1
	s_mov_b32 s46, 0
.LBB4_55:                               ;   in Loop: Header=BB4_4 Depth=1
	s_andn2_b32 vcc_lo, exec_lo, s46
	s_cbranch_vccnz .LBB4_62
; %bb.56:                               ;   in Loop: Header=BB4_4 Depth=1
	s_and_saveexec_b32 s50, s0
	s_cbranch_execz .LBB4_61
; %bb.57:                               ;   in Loop: Header=BB4_4 Depth=1
	s_lshl_b64 s[46:47], s[26:27], 2
	v_mov_b32_e32 v5, v0
	s_add_u32 s51, s81, s46
	s_addc_u32 s52, s82, s47
	s_mov_b32 s53, 0
	s_branch .LBB4_59
.LBB4_58:                               ;   in Loop: Header=BB4_59 Depth=2
	v_add_nc_u32_e32 v5, s4, v5
	v_add_co_u32 v6, vcc_lo, s51, v6
	v_add_co_ci_u32_e64 v7, null, s52, v7, vcc_lo
	v_cmp_le_i32_e32 vcc_lo, s3, v5
	v_add_co_u32 v3, s2, v3, s36
	v_add_co_ci_u32_e64 v4, null, s37, v4, s2
	s_or_b32 s53, vcc_lo, s53
	s_waitcnt vmcnt(0)
	global_store_dword v[6:7], v10, off
	s_andn2_b32 exec_lo, exec_lo, s53
	s_cbranch_execz .LBB4_61
.LBB4_59:                               ;   Parent Loop BB4_4 Depth=1
                                        ; =>  This Loop Header: Depth=2
                                        ;       Child Loop BB4_60 Depth 3
	v_ashrrev_i32_e32 v6, 31, v5
	s_mov_b64 s[46:47], s[40:41]
	s_mov_b64 s[48:49], s[16:17]
	s_mov_b32 s2, s69
	v_lshlrev_b64 v[6:7], 2, v[5:6]
	v_add_co_u32 v8, vcc_lo, s81, v6
	v_add_co_ci_u32_e64 v9, null, s82, v7, vcc_lo
	s_andn2_b32 vcc_lo, exec_lo, s70
	global_load_dword v10, v[8:9], off
	v_mov_b32_e32 v9, v4
	v_mov_b32_e32 v8, v3
	s_cbranch_vccnz .LBB4_58
	.p2align	6
.LBB4_60:                               ;   Parent Loop BB4_4 Depth=1
                                        ;     Parent Loop BB4_59 Depth=2
                                        ; =>    This Inner Loop Header: Depth=3
	v_add_co_u32 v11, vcc_lo, v8, s34
	v_add_co_ci_u32_e64 v12, null, s35, v9, vcc_lo
	s_add_i32 s2, s2, -1
	global_load_dword v13, v[11:12], off
	s_clause 0x1
	global_load_dword v14, v34, s[46:47]
	global_load_dword v15, v34, s[48:49]
	s_add_u32 s48, s48, 4
	s_addc_u32 s49, s49, 0
	s_add_u32 s46, s46, 4
	s_addc_u32 s47, s47, 0
	s_cmp_eq_u32 s2, 0
	s_waitcnt vmcnt(1)
	v_mul_f32_e32 v35, v14, v13
	v_mul_f32_e32 v14, v10, v14
	s_waitcnt vmcnt(0)
	v_fmac_f32_e32 v35, v10, v15
	v_fma_f32 v10, v15, v13, -v14
	global_store_dword v[8:9], v35, off
	v_mov_b32_e32 v8, v11
	v_mov_b32_e32 v9, v12
	s_cbranch_scc0 .LBB4_60
	s_branch .LBB4_58
.LBB4_61:                               ;   in Loop: Header=BB4_4 Depth=1
	s_or_b32 exec_lo, exec_lo, s50
.LBB4_62:                               ;   in Loop: Header=BB4_4 Depth=1
	s_mov_b32 s46, 0
.LBB4_63:                               ;   in Loop: Header=BB4_4 Depth=1
	s_andn2_b32 vcc_lo, exec_lo, s46
	s_cbranch_vccnz .LBB4_70
; %bb.64:                               ;   in Loop: Header=BB4_4 Depth=1
	s_and_saveexec_b32 s50, s1
	s_cbranch_execz .LBB4_69
; %bb.65:                               ;   in Loop: Header=BB4_4 Depth=1
	v_add_co_u32 v3, vcc_lo, v24, s84
	v_add_co_ci_u32_e64 v4, null, s83, v25, vcc_lo
	s_lshl_b64 s[46:47], s[28:29], 2
	v_mov_b32_e32 v9, v0
	s_add_u32 s51, s81, s46
	s_addc_u32 s52, s82, s47
	s_mov_b32 s53, 0
	s_branch .LBB4_67
.LBB4_66:                               ;   in Loop: Header=BB4_67 Depth=2
	v_add_nc_u32_e32 v9, s4, v9
	v_add_co_u32 v3, s2, v3, s38
	v_add_co_ci_u32_e64 v4, null, s39, v4, s2
	v_cmp_le_i32_e32 vcc_lo, s56, v9
	s_waitcnt vmcnt(0)
	global_store_dword v[5:6], v10, off offset:-4
	s_or_b32 s53, vcc_lo, s53
	s_andn2_b32 exec_lo, exec_lo, s53
	s_cbranch_execz .LBB4_69
.LBB4_67:                               ;   Parent Loop BB4_4 Depth=1
                                        ; =>  This Loop Header: Depth=2
                                        ;       Child Loop BB4_68 Depth 3
	v_mad_i64_i32 v[5:6], null, v9, s20, 0
	v_mov_b32_e32 v8, v4
	v_mov_b32_e32 v7, v3
	s_mov_b64 s[46:47], s[44:45]
	s_mov_b64 s[48:49], s[42:43]
	s_mov_b32 s2, s24
	v_lshlrev_b64 v[5:6], 2, v[5:6]
	v_add_co_u32 v5, vcc_lo, s51, v5
	v_add_co_ci_u32_e64 v6, null, s52, v6, vcc_lo
	s_andn2_b32 vcc_lo, exec_lo, s71
	global_load_dword v10, v[5:6], off offset:-4
	s_cbranch_vccnz .LBB4_66
	.p2align	6
.LBB4_68:                               ;   Parent Loop BB4_4 Depth=1
                                        ;     Parent Loop BB4_67 Depth=2
                                        ; =>    This Inner Loop Header: Depth=3
	global_load_dword v11, v[7:8], off
	s_clause 0x1
	global_load_dword v12, v34, s[48:49]
	global_load_dword v13, v34, s[46:47]
	s_add_i32 s2, s2, -1
	s_add_u32 s48, s48, -4
	s_addc_u32 s49, s49, -1
	s_add_u32 s46, s46, -4
	s_addc_u32 s47, s47, -1
	s_cmp_eq_u32 s2, 0
	s_waitcnt vmcnt(1)
	v_mul_f32_e32 v14, v12, v11
	s_waitcnt vmcnt(0)
	v_mul_f32_e32 v11, v13, v11
	v_fmac_f32_e32 v14, v10, v13
	v_fma_f32 v10, v10, v12, -v11
	global_store_dword v[7:8], v14, off
	v_add_co_u32 v7, vcc_lo, v7, -4
	v_add_co_ci_u32_e64 v8, null, -1, v8, vcc_lo
	s_cbranch_scc0 .LBB4_68
	s_branch .LBB4_66
.LBB4_69:                               ;   in Loop: Header=BB4_4 Depth=1
	s_or_b32 exec_lo, exec_lo, s50
.LBB4_70:                               ;   in Loop: Header=BB4_4 Depth=1
	s_mov_b32 s46, 0
.LBB4_71:                               ;   in Loop: Header=BB4_4 Depth=1
	s_andn2_b32 vcc_lo, exec_lo, s46
	s_cbranch_vccnz .LBB4_78
; %bb.72:                               ;   in Loop: Header=BB4_4 Depth=1
	s_and_saveexec_b32 s50, s1
	s_cbranch_execz .LBB4_77
; %bb.73:                               ;   in Loop: Header=BB4_4 Depth=1
	v_add_co_u32 v3, vcc_lo, v26, s84
	v_add_co_ci_u32_e64 v4, null, s83, v27, vcc_lo
	s_lshl_b64 s[46:47], s[28:29], 2
	v_mov_b32_e32 v9, v0
	s_add_u32 s51, s81, s46
	s_addc_u32 s52, s82, s47
	s_mov_b32 s53, 0
	s_branch .LBB4_75
.LBB4_74:                               ;   in Loop: Header=BB4_75 Depth=2
	v_add_nc_u32_e32 v9, s4, v9
	v_add_co_u32 v3, s2, v3, s38
	v_add_co_ci_u32_e64 v4, null, s39, v4, s2
	v_cmp_le_i32_e32 vcc_lo, s56, v9
	s_waitcnt vmcnt(0)
	global_store_dword v[5:6], v10, off offset:-4
	s_or_b32 s53, vcc_lo, s53
	s_andn2_b32 exec_lo, exec_lo, s53
	s_cbranch_execz .LBB4_77
.LBB4_75:                               ;   Parent Loop BB4_4 Depth=1
                                        ; =>  This Loop Header: Depth=2
                                        ;       Child Loop BB4_76 Depth 3
	v_mad_i64_i32 v[5:6], null, v9, s20, 0
	v_mov_b32_e32 v8, v4
	v_mov_b32_e32 v7, v3
	s_mov_b64 s[46:47], s[40:41]
	s_mov_b64 s[48:49], s[16:17]
	s_mov_b32 s2, s24
	v_lshlrev_b64 v[5:6], 2, v[5:6]
	v_add_co_u32 v5, vcc_lo, s51, v5
	v_add_co_ci_u32_e64 v6, null, s52, v6, vcc_lo
	s_andn2_b32 vcc_lo, exec_lo, s71
	global_load_dword v10, v[5:6], off offset:-4
	s_cbranch_vccnz .LBB4_74
	.p2align	6
.LBB4_76:                               ;   Parent Loop BB4_4 Depth=1
                                        ;     Parent Loop BB4_75 Depth=2
                                        ; =>    This Inner Loop Header: Depth=3
	global_load_dword v11, v[7:8], off
	s_clause 0x1
	global_load_dword v12, v34, s[48:49]
	global_load_dword v13, v34, s[46:47]
	s_add_i32 s2, s2, -1
	s_add_u32 s48, s48, 4
	s_addc_u32 s49, s49, 0
	s_add_u32 s46, s46, 4
	s_addc_u32 s47, s47, 0
	s_cmp_eq_u32 s2, 0
	s_waitcnt vmcnt(1)
	v_mul_f32_e32 v14, v12, v11
	s_waitcnt vmcnt(0)
	v_mul_f32_e32 v11, v13, v11
	v_fmac_f32_e32 v14, v10, v13
	v_fma_f32 v10, v10, v12, -v11
	global_store_dword v[7:8], v14, off
	v_add_co_u32 v7, vcc_lo, v7, 4
	v_add_co_ci_u32_e64 v8, null, 0, v8, vcc_lo
	s_cbranch_scc0 .LBB4_76
	s_branch .LBB4_74
.LBB4_77:                               ;   in Loop: Header=BB4_4 Depth=1
	s_or_b32 exec_lo, exec_lo, s50
.LBB4_78:                               ;   in Loop: Header=BB4_4 Depth=1
	s_mov_b32 s46, 0
.LBB4_79:                               ;   in Loop: Header=BB4_4 Depth=1
	s_andn2_b32 vcc_lo, exec_lo, s46
	s_cbranch_vccnz .LBB4_86
; %bb.80:                               ;   in Loop: Header=BB4_4 Depth=1
	s_and_saveexec_b32 s50, s1
	s_cbranch_execz .LBB4_85
; %bb.81:                               ;   in Loop: Header=BB4_4 Depth=1
	v_add_co_u32 v3, vcc_lo, v28, s84
	v_add_co_ci_u32_e64 v4, null, s83, v29, vcc_lo
	v_mov_b32_e32 v9, v0
	s_mov_b32 s51, 0
	s_branch .LBB4_83
.LBB4_82:                               ;   in Loop: Header=BB4_83 Depth=2
	v_add_nc_u32_e32 v9, s4, v9
	v_add_co_u32 v3, s2, v3, s38
	v_add_co_ci_u32_e64 v4, null, s39, v4, s2
	v_cmp_le_i32_e32 vcc_lo, s56, v9
	s_waitcnt vmcnt(0)
	global_store_dword v[5:6], v10, off
	s_or_b32 s51, vcc_lo, s51
	s_andn2_b32 exec_lo, exec_lo, s51
	s_cbranch_execz .LBB4_85
.LBB4_83:                               ;   Parent Loop BB4_4 Depth=1
                                        ; =>  This Loop Header: Depth=2
                                        ;       Child Loop BB4_84 Depth 3
	v_mad_i64_i32 v[5:6], null, v9, s20, 0
	v_mov_b32_e32 v8, v4
	v_mov_b32_e32 v7, v3
	s_mov_b64 s[46:47], s[44:45]
	s_mov_b64 s[48:49], s[42:43]
	s_mov_b32 s2, s25
	v_lshlrev_b64 v[5:6], 2, v[5:6]
	v_add_co_u32 v5, vcc_lo, s81, v5
	v_add_co_ci_u32_e64 v6, null, s82, v6, vcc_lo
	s_andn2_b32 vcc_lo, exec_lo, s71
	global_load_dword v10, v[5:6], off
	s_cbranch_vccnz .LBB4_82
	.p2align	6
.LBB4_84:                               ;   Parent Loop BB4_4 Depth=1
                                        ;     Parent Loop BB4_83 Depth=2
                                        ; =>    This Inner Loop Header: Depth=3
	s_clause 0x1
	global_load_dword v11, v34, s[46:47]
	global_load_dword v12, v34, s[48:49]
	global_load_dword v13, v[7:8], off
	s_waitcnt vmcnt(3)
	v_mov_b32_e32 v14, v10
	s_add_i32 s2, s2, -1
	s_add_u32 s48, s48, -4
	s_addc_u32 s49, s49, -1
	s_add_u32 s46, s46, -4
	s_addc_u32 s47, s47, -1
	s_cmp_lt_u32 s2, 3
	s_waitcnt vmcnt(2)
	v_mul_f32_e32 v15, v14, v11
	s_waitcnt vmcnt(0)
	v_mul_f32_e32 v10, v11, v13
	v_fma_f32 v11, v12, v13, -v15
	v_fmac_f32_e32 v10, v14, v12
	global_store_dword v[7:8], v11, off
	v_add_co_u32 v7, vcc_lo, v7, -4
	v_add_co_ci_u32_e64 v8, null, -1, v8, vcc_lo
	s_cbranch_scc0 .LBB4_84
	s_branch .LBB4_82
.LBB4_85:                               ;   in Loop: Header=BB4_4 Depth=1
	s_or_b32 exec_lo, exec_lo, s50
.LBB4_86:                               ;   in Loop: Header=BB4_4 Depth=1
	s_mov_b32 s46, 0
.LBB4_87:                               ;   in Loop: Header=BB4_4 Depth=1
	s_andn2_b32 vcc_lo, exec_lo, s46
	s_cbranch_vccnz .LBB4_94
; %bb.88:                               ;   in Loop: Header=BB4_4 Depth=1
	s_and_saveexec_b32 s50, s1
	s_cbranch_execz .LBB4_93
; %bb.89:                               ;   in Loop: Header=BB4_4 Depth=1
	v_mov_b32_e32 v4, v2
	v_mov_b32_e32 v3, v1
	;; [unrolled: 1-line block ×3, first 2 shown]
	s_mov_b32 s51, 0
	s_branch .LBB4_91
.LBB4_90:                               ;   in Loop: Header=BB4_91 Depth=2
	v_add_nc_u32_e32 v9, s4, v9
	v_add_co_u32 v3, s2, v3, s38
	v_add_co_ci_u32_e64 v4, null, s39, v4, s2
	v_cmp_le_i32_e32 vcc_lo, s56, v9
	s_waitcnt vmcnt(0)
	global_store_dword v[5:6], v10, off
	s_or_b32 s51, vcc_lo, s51
	s_andn2_b32 exec_lo, exec_lo, s51
	s_cbranch_execz .LBB4_93
.LBB4_91:                               ;   Parent Loop BB4_4 Depth=1
                                        ; =>  This Loop Header: Depth=2
                                        ;       Child Loop BB4_92 Depth 3
	v_mad_i64_i32 v[5:6], null, v9, s20, 0
	v_mov_b32_e32 v8, v4
	v_mov_b32_e32 v7, v3
	s_mov_b32 s2, s24
	s_mov_b64 s[46:47], s[16:17]
	s_mov_b64 s[48:49], s[40:41]
	v_lshlrev_b64 v[5:6], 2, v[5:6]
	v_add_co_u32 v5, vcc_lo, s81, v5
	v_add_co_ci_u32_e64 v6, null, s82, v6, vcc_lo
	s_andn2_b32 vcc_lo, exec_lo, s71
	global_load_dword v10, v[5:6], off
	s_cbranch_vccnz .LBB4_90
	.p2align	6
.LBB4_92:                               ;   Parent Loop BB4_4 Depth=1
                                        ;     Parent Loop BB4_91 Depth=2
                                        ; =>    This Inner Loop Header: Depth=3
	s_clause 0x1
	global_load_dword v11, v34, s[48:49]
	global_load_dword v12, v34, s[46:47]
	global_load_dword v13, v[7:8], off
	s_waitcnt vmcnt(3)
	v_mov_b32_e32 v14, v10
	s_add_u32 s48, s48, 4
	s_addc_u32 s49, s49, 0
	s_add_u32 s46, s46, 4
	s_addc_u32 s47, s47, 0
	s_add_i32 s2, s2, -1
	s_cmp_eq_u32 s2, 0
	s_waitcnt vmcnt(2)
	v_mul_f32_e32 v15, v14, v11
	s_waitcnt vmcnt(0)
	v_mul_f32_e32 v10, v11, v13
	v_fma_f32 v11, v12, v13, -v15
	v_fmac_f32_e32 v10, v14, v12
	global_store_dword v[7:8], v11, off
	v_add_co_u32 v7, vcc_lo, v7, 4
	v_add_co_ci_u32_e64 v8, null, 0, v8, vcc_lo
	s_cbranch_scc0 .LBB4_92
	s_branch .LBB4_90
.LBB4_93:                               ;   in Loop: Header=BB4_4 Depth=1
	s_or_b32 exec_lo, exec_lo, s50
.LBB4_94:                               ;   in Loop: Header=BB4_4 Depth=1
	s_mov_b32 s46, 0
.LBB4_95:                               ;   in Loop: Header=BB4_4 Depth=1
	s_andn2_b32 vcc_lo, exec_lo, s46
	s_cbranch_vccnz .LBB4_102
; %bb.96:                               ;   in Loop: Header=BB4_4 Depth=1
	s_and_saveexec_b32 s50, s1
	s_cbranch_execz .LBB4_101
; %bb.97:                               ;   in Loop: Header=BB4_4 Depth=1
	v_add_co_u32 v3, vcc_lo, v32, s84
	v_add_co_ci_u32_e64 v4, null, s83, v33, vcc_lo
	s_lshl_b64 s[46:47], s[28:29], 2
	v_mov_b32_e32 v9, v0
	s_add_u32 s51, s81, s46
	s_addc_u32 s52, s82, s47
	s_mov_b32 s53, 0
	s_branch .LBB4_99
.LBB4_98:                               ;   in Loop: Header=BB4_99 Depth=2
	v_add_nc_u32_e32 v9, s4, v9
	v_add_co_u32 v5, vcc_lo, s81, v5
	v_add_co_ci_u32_e64 v6, null, s82, v6, vcc_lo
	v_cmp_le_i32_e32 vcc_lo, s56, v9
	v_add_co_u32 v3, s2, v3, s38
	v_add_co_ci_u32_e64 v4, null, s39, v4, s2
	s_or_b32 s53, vcc_lo, s53
	s_waitcnt vmcnt(0)
	global_store_dword v[5:6], v10, off
	s_andn2_b32 exec_lo, exec_lo, s53
	s_cbranch_execz .LBB4_101
.LBB4_99:                               ;   Parent Loop BB4_4 Depth=1
                                        ; =>  This Loop Header: Depth=2
                                        ;       Child Loop BB4_100 Depth 3
	v_mad_i64_i32 v[5:6], null, v9, s20, 0
	s_mov_b64 s[46:47], s[44:45]
	s_mov_b64 s[48:49], s[42:43]
	s_mov_b32 s2, s24
	v_lshlrev_b64 v[5:6], 2, v[5:6]
	v_add_co_u32 v7, vcc_lo, s51, v5
	v_add_co_ci_u32_e64 v8, null, s52, v6, vcc_lo
	s_andn2_b32 vcc_lo, exec_lo, s71
	global_load_dword v10, v[7:8], off offset:-4
	v_mov_b32_e32 v8, v4
	v_mov_b32_e32 v7, v3
	s_cbranch_vccnz .LBB4_98
	.p2align	6
.LBB4_100:                              ;   Parent Loop BB4_4 Depth=1
                                        ;     Parent Loop BB4_99 Depth=2
                                        ; =>    This Inner Loop Header: Depth=3
	global_load_dword v13, v[7:8], off offset:-4
	s_clause 0x1
	global_load_dword v14, v34, s[46:47]
	global_load_dword v15, v34, s[48:49]
	s_waitcnt vmcnt(3)
	v_mov_b32_e32 v35, v10
	v_add_co_u32 v11, vcc_lo, v7, -4
	v_add_co_ci_u32_e64 v12, null, -1, v8, vcc_lo
	s_add_i32 s2, s2, -1
	s_add_u32 s48, s48, -4
	s_addc_u32 s49, s49, -1
	s_add_u32 s46, s46, -4
	s_addc_u32 s47, s47, -1
	s_cmp_eq_u32 s2, 0
	s_waitcnt vmcnt(1)
	v_mul_f32_e32 v36, v14, v13
	s_waitcnt vmcnt(0)
	v_mul_f32_e32 v10, v15, v13
	v_fma_f32 v13, v35, v15, -v36
	v_fmac_f32_e32 v10, v35, v14
	global_store_dword v[7:8], v13, off
	v_mov_b32_e32 v7, v11
	v_mov_b32_e32 v8, v12
	s_cbranch_scc0 .LBB4_100
	s_branch .LBB4_98
.LBB4_101:                              ;   in Loop: Header=BB4_4 Depth=1
	s_or_b32 exec_lo, exec_lo, s50
.LBB4_102:                              ;   in Loop: Header=BB4_4 Depth=1
	s_cbranch_execnz .LBB4_3
.LBB4_103:                              ;   in Loop: Header=BB4_4 Depth=1
	s_and_saveexec_b32 s46, s1
	s_cbranch_execz .LBB4_2
; %bb.104:                              ;   in Loop: Header=BB4_4 Depth=1
	s_lshl_b64 s[42:43], s[28:29], 2
	v_mov_b32_e32 v7, v0
	s_add_u32 s47, s81, s42
	s_addc_u32 s48, s82, s43
	s_mov_b32 s49, 0
	s_branch .LBB4_106
.LBB4_105:                              ;   in Loop: Header=BB4_106 Depth=2
	v_add_nc_u32_e32 v7, s4, v7
	v_add_co_u32 v3, vcc_lo, s47, v3
	v_add_co_ci_u32_e64 v4, null, s48, v4, vcc_lo
	v_cmp_le_i32_e32 vcc_lo, s56, v7
	v_add_co_u32 v1, s2, v1, s38
	v_add_co_ci_u32_e64 v2, null, s39, v2, s2
	s_or_b32 s49, vcc_lo, s49
	s_waitcnt vmcnt(0)
	global_store_dword v[3:4], v8, off offset:-4
	s_andn2_b32 exec_lo, exec_lo, s49
	s_cbranch_execz .LBB4_2
.LBB4_106:                              ;   Parent Loop BB4_4 Depth=1
                                        ; =>  This Loop Header: Depth=2
                                        ;       Child Loop BB4_107 Depth 3
	v_mad_i64_i32 v[3:4], null, v7, s20, 0
	s_mov_b64 s[42:43], s[40:41]
	s_mov_b64 s[44:45], s[16:17]
	s_mov_b32 s2, s24
	v_lshlrev_b64 v[3:4], 2, v[3:4]
	v_add_co_u32 v5, vcc_lo, s81, v3
	v_add_co_ci_u32_e64 v6, null, s82, v4, vcc_lo
	s_andn2_b32 vcc_lo, exec_lo, s71
	global_load_dword v8, v[5:6], off
	v_mov_b32_e32 v6, v2
	v_mov_b32_e32 v5, v1
	s_cbranch_vccnz .LBB4_105
	.p2align	6
.LBB4_107:                              ;   Parent Loop BB4_4 Depth=1
                                        ;     Parent Loop BB4_106 Depth=2
                                        ; =>    This Inner Loop Header: Depth=3
	global_load_dword v9, v[5:6], off
	s_clause 0x1
	global_load_dword v10, v34, s[42:43]
	global_load_dword v11, v34, s[44:45]
	s_add_i32 s2, s2, -1
	s_add_u32 s44, s44, 4
	s_addc_u32 s45, s45, 0
	s_add_u32 s42, s42, 4
	s_addc_u32 s43, s43, 0
	s_cmp_eq_u32 s2, 0
	s_waitcnt vmcnt(1)
	v_mul_f32_e32 v12, v10, v9
	v_mul_f32_e32 v10, v8, v10
	s_waitcnt vmcnt(0)
	v_fmac_f32_e32 v12, v8, v11
	v_fma_f32 v8, v11, v9, -v10
	global_store_dword v[5:6], v12, off offset:-4
	v_add_co_u32 v5, vcc_lo, v5, 4
	v_add_co_ci_u32_e64 v6, null, 0, v6, vcc_lo
	s_cbranch_scc0 .LBB4_107
	s_branch .LBB4_105
.LBB4_108:
	s_endpgm
	.section	.rodata,"a",@progbits
	.p2align	6, 0x0
	.amdhsa_kernel _ZN9rocsolver6v33100L11lasr_kernelIffPfiEEv13rocblas_side_14rocblas_pivot_15rocblas_direct_T2_S6_PT0_lS8_lT1_lS6_lS6_
		.amdhsa_group_segment_fixed_size 0
		.amdhsa_private_segment_fixed_size 0
		.amdhsa_kernarg_size 352
		.amdhsa_user_sgpr_count 6
		.amdhsa_user_sgpr_private_segment_buffer 1
		.amdhsa_user_sgpr_dispatch_ptr 0
		.amdhsa_user_sgpr_queue_ptr 0
		.amdhsa_user_sgpr_kernarg_segment_ptr 1
		.amdhsa_user_sgpr_dispatch_id 0
		.amdhsa_user_sgpr_flat_scratch_init 0
		.amdhsa_user_sgpr_private_segment_size 0
		.amdhsa_wavefront_size32 1
		.amdhsa_uses_dynamic_stack 0
		.amdhsa_system_sgpr_private_segment_wavefront_offset 0
		.amdhsa_system_sgpr_workgroup_id_x 1
		.amdhsa_system_sgpr_workgroup_id_y 0
		.amdhsa_system_sgpr_workgroup_id_z 1
		.amdhsa_system_sgpr_workgroup_info 0
		.amdhsa_system_vgpr_workitem_id 0
		.amdhsa_next_free_vgpr 41
		.amdhsa_next_free_sgpr 89
		.amdhsa_reserve_vcc 1
		.amdhsa_reserve_flat_scratch 0
		.amdhsa_float_round_mode_32 0
		.amdhsa_float_round_mode_16_64 0
		.amdhsa_float_denorm_mode_32 3
		.amdhsa_float_denorm_mode_16_64 3
		.amdhsa_dx10_clamp 1
		.amdhsa_ieee_mode 1
		.amdhsa_fp16_overflow 0
		.amdhsa_workgroup_processor_mode 1
		.amdhsa_memory_ordered 1
		.amdhsa_forward_progress 1
		.amdhsa_shared_vgpr_count 0
		.amdhsa_exception_fp_ieee_invalid_op 0
		.amdhsa_exception_fp_denorm_src 0
		.amdhsa_exception_fp_ieee_div_zero 0
		.amdhsa_exception_fp_ieee_overflow 0
		.amdhsa_exception_fp_ieee_underflow 0
		.amdhsa_exception_fp_ieee_inexact 0
		.amdhsa_exception_int_div_zero 0
	.end_amdhsa_kernel
	.section	.text._ZN9rocsolver6v33100L11lasr_kernelIffPfiEEv13rocblas_side_14rocblas_pivot_15rocblas_direct_T2_S6_PT0_lS8_lT1_lS6_lS6_,"axG",@progbits,_ZN9rocsolver6v33100L11lasr_kernelIffPfiEEv13rocblas_side_14rocblas_pivot_15rocblas_direct_T2_S6_PT0_lS8_lT1_lS6_lS6_,comdat
.Lfunc_end4:
	.size	_ZN9rocsolver6v33100L11lasr_kernelIffPfiEEv13rocblas_side_14rocblas_pivot_15rocblas_direct_T2_S6_PT0_lS8_lT1_lS6_lS6_, .Lfunc_end4-_ZN9rocsolver6v33100L11lasr_kernelIffPfiEEv13rocblas_side_14rocblas_pivot_15rocblas_direct_T2_S6_PT0_lS8_lT1_lS6_lS6_
                                        ; -- End function
	.set _ZN9rocsolver6v33100L11lasr_kernelIffPfiEEv13rocblas_side_14rocblas_pivot_15rocblas_direct_T2_S6_PT0_lS8_lT1_lS6_lS6_.num_vgpr, 41
	.set _ZN9rocsolver6v33100L11lasr_kernelIffPfiEEv13rocblas_side_14rocblas_pivot_15rocblas_direct_T2_S6_PT0_lS8_lT1_lS6_lS6_.num_agpr, 0
	.set _ZN9rocsolver6v33100L11lasr_kernelIffPfiEEv13rocblas_side_14rocblas_pivot_15rocblas_direct_T2_S6_PT0_lS8_lT1_lS6_lS6_.numbered_sgpr, 89
	.set _ZN9rocsolver6v33100L11lasr_kernelIffPfiEEv13rocblas_side_14rocblas_pivot_15rocblas_direct_T2_S6_PT0_lS8_lT1_lS6_lS6_.num_named_barrier, 0
	.set _ZN9rocsolver6v33100L11lasr_kernelIffPfiEEv13rocblas_side_14rocblas_pivot_15rocblas_direct_T2_S6_PT0_lS8_lT1_lS6_lS6_.private_seg_size, 0
	.set _ZN9rocsolver6v33100L11lasr_kernelIffPfiEEv13rocblas_side_14rocblas_pivot_15rocblas_direct_T2_S6_PT0_lS8_lT1_lS6_lS6_.uses_vcc, 1
	.set _ZN9rocsolver6v33100L11lasr_kernelIffPfiEEv13rocblas_side_14rocblas_pivot_15rocblas_direct_T2_S6_PT0_lS8_lT1_lS6_lS6_.uses_flat_scratch, 0
	.set _ZN9rocsolver6v33100L11lasr_kernelIffPfiEEv13rocblas_side_14rocblas_pivot_15rocblas_direct_T2_S6_PT0_lS8_lT1_lS6_lS6_.has_dyn_sized_stack, 0
	.set _ZN9rocsolver6v33100L11lasr_kernelIffPfiEEv13rocblas_side_14rocblas_pivot_15rocblas_direct_T2_S6_PT0_lS8_lT1_lS6_lS6_.has_recursion, 0
	.set _ZN9rocsolver6v33100L11lasr_kernelIffPfiEEv13rocblas_side_14rocblas_pivot_15rocblas_direct_T2_S6_PT0_lS8_lT1_lS6_lS6_.has_indirect_call, 0
	.section	.AMDGPU.csdata,"",@progbits
; Kernel info:
; codeLenInByte = 4916
; TotalNumSgprs: 91
; NumVgprs: 41
; ScratchSize: 0
; MemoryBound: 0
; FloatMode: 240
; IeeeMode: 1
; LDSByteSize: 0 bytes/workgroup (compile time only)
; SGPRBlocks: 0
; VGPRBlocks: 5
; NumSGPRsForWavesPerEU: 91
; NumVGPRsForWavesPerEU: 41
; Occupancy: 16
; WaveLimiterHint : 0
; COMPUTE_PGM_RSRC2:SCRATCH_EN: 0
; COMPUTE_PGM_RSRC2:USER_SGPR: 6
; COMPUTE_PGM_RSRC2:TRAP_HANDLER: 0
; COMPUTE_PGM_RSRC2:TGID_X_EN: 1
; COMPUTE_PGM_RSRC2:TGID_Y_EN: 0
; COMPUTE_PGM_RSRC2:TGID_Z_EN: 1
; COMPUTE_PGM_RSRC2:TIDIG_COMP_CNT: 0
	.section	.text._ZN9rocsolver6v33100L11scal_kernelIffiEEvT1_T_PT0_S2_,"axG",@progbits,_ZN9rocsolver6v33100L11scal_kernelIffiEEvT1_T_PT0_S2_,comdat
	.globl	_ZN9rocsolver6v33100L11scal_kernelIffiEEvT1_T_PT0_S2_ ; -- Begin function _ZN9rocsolver6v33100L11scal_kernelIffiEEvT1_T_PT0_S2_
	.p2align	8
	.type	_ZN9rocsolver6v33100L11scal_kernelIffiEEvT1_T_PT0_S2_,@function
_ZN9rocsolver6v33100L11scal_kernelIffiEEvT1_T_PT0_S2_: ; @_ZN9rocsolver6v33100L11scal_kernelIffiEEvT1_T_PT0_S2_
; %bb.0:
	s_load_dwordx2 s[2:3], s[4:5], 0x0
	s_waitcnt lgkmcnt(0)
	s_cmp_lt_i32 s2, 1
	s_cbranch_scc1 .LBB5_10
; %bb.1:
	s_clause 0x3
	s_load_dword s0, s[4:5], 0x24
	s_load_dword s7, s[4:5], 0x18
	;; [unrolled: 1-line block ×3, first 2 shown]
	s_load_dwordx2 s[8:9], s[4:5], 0x8
	s_mov_b32 s5, -1
	s_waitcnt lgkmcnt(0)
	s_and_b32 s4, s0, 0xffff
	v_mad_u64_u32 v[0:1], null, s6, s4, v[0:1]
	s_mul_i32 s4, s7, s4
	s_cmp_eq_u32 s1, 1
	v_cmp_gt_i32_e64 s0, s2, v0
	s_cbranch_scc1 .LBB5_6
; %bb.2:
	s_and_saveexec_b32 s5, s0
	s_cbranch_execz .LBB5_5
; %bb.3:
	v_mad_i64_i32 v[1:2], null, s1, v0, 0
	v_mov_b32_e32 v3, v0
	s_mul_hi_i32 s7, s1, s4
	s_mul_i32 s6, s1, s4
	s_mov_b32 s10, 0
	s_lshl_b64 s[6:7], s[6:7], 2
	v_lshlrev_b64 v[1:2], 2, v[1:2]
	v_add_co_u32 v1, vcc_lo, s8, v1
	v_add_co_ci_u32_e64 v2, null, s9, v2, vcc_lo
.LBB5_4:                                ; =>This Inner Loop Header: Depth=1
	global_load_dword v4, v[1:2], off
	v_add_nc_u32_e32 v3, s4, v3
	v_cmp_le_i32_e32 vcc_lo, s2, v3
	s_or_b32 s10, vcc_lo, s10
	s_waitcnt vmcnt(0)
	v_mul_f32_e32 v4, s3, v4
	global_store_dword v[1:2], v4, off
	v_add_co_u32 v1, s1, v1, s6
	v_add_co_ci_u32_e64 v2, null, s7, v2, s1
	s_andn2_b32 exec_lo, exec_lo, s10
	s_cbranch_execnz .LBB5_4
.LBB5_5:
	s_or_b32 exec_lo, exec_lo, s5
	s_mov_b32 s5, 0
.LBB5_6:
	s_andn2_b32 vcc_lo, exec_lo, s5
	s_cbranch_vccnz .LBB5_10
; %bb.7:
	s_and_saveexec_b32 s1, s0
	s_cbranch_execz .LBB5_10
; %bb.8:
	v_ashrrev_i32_e32 v1, 31, v0
	s_ashr_i32 s5, s4, 31
	s_mov_b32 s1, 0
	s_lshl_b64 s[6:7], s[4:5], 2
	v_lshlrev_b64 v[1:2], 2, v[0:1]
	v_add_co_u32 v1, vcc_lo, s8, v1
	v_add_co_ci_u32_e64 v2, null, s9, v2, vcc_lo
.LBB5_9:                                ; =>This Inner Loop Header: Depth=1
	global_load_dword v3, v[1:2], off
	v_add_nc_u32_e32 v0, s4, v0
	v_cmp_le_i32_e32 vcc_lo, s2, v0
	s_or_b32 s1, vcc_lo, s1
	s_waitcnt vmcnt(0)
	v_mul_f32_e32 v3, s3, v3
	global_store_dword v[1:2], v3, off
	v_add_co_u32 v1, s0, v1, s6
	v_add_co_ci_u32_e64 v2, null, s7, v2, s0
	s_andn2_b32 exec_lo, exec_lo, s1
	s_cbranch_execnz .LBB5_9
.LBB5_10:
	s_endpgm
	.section	.rodata,"a",@progbits
	.p2align	6, 0x0
	.amdhsa_kernel _ZN9rocsolver6v33100L11scal_kernelIffiEEvT1_T_PT0_S2_
		.amdhsa_group_segment_fixed_size 0
		.amdhsa_private_segment_fixed_size 0
		.amdhsa_kernarg_size 280
		.amdhsa_user_sgpr_count 6
		.amdhsa_user_sgpr_private_segment_buffer 1
		.amdhsa_user_sgpr_dispatch_ptr 0
		.amdhsa_user_sgpr_queue_ptr 0
		.amdhsa_user_sgpr_kernarg_segment_ptr 1
		.amdhsa_user_sgpr_dispatch_id 0
		.amdhsa_user_sgpr_flat_scratch_init 0
		.amdhsa_user_sgpr_private_segment_size 0
		.amdhsa_wavefront_size32 1
		.amdhsa_uses_dynamic_stack 0
		.amdhsa_system_sgpr_private_segment_wavefront_offset 0
		.amdhsa_system_sgpr_workgroup_id_x 1
		.amdhsa_system_sgpr_workgroup_id_y 0
		.amdhsa_system_sgpr_workgroup_id_z 0
		.amdhsa_system_sgpr_workgroup_info 0
		.amdhsa_system_vgpr_workitem_id 0
		.amdhsa_next_free_vgpr 5
		.amdhsa_next_free_sgpr 11
		.amdhsa_reserve_vcc 1
		.amdhsa_reserve_flat_scratch 0
		.amdhsa_float_round_mode_32 0
		.amdhsa_float_round_mode_16_64 0
		.amdhsa_float_denorm_mode_32 3
		.amdhsa_float_denorm_mode_16_64 3
		.amdhsa_dx10_clamp 1
		.amdhsa_ieee_mode 1
		.amdhsa_fp16_overflow 0
		.amdhsa_workgroup_processor_mode 1
		.amdhsa_memory_ordered 1
		.amdhsa_forward_progress 1
		.amdhsa_shared_vgpr_count 0
		.amdhsa_exception_fp_ieee_invalid_op 0
		.amdhsa_exception_fp_denorm_src 0
		.amdhsa_exception_fp_ieee_div_zero 0
		.amdhsa_exception_fp_ieee_overflow 0
		.amdhsa_exception_fp_ieee_underflow 0
		.amdhsa_exception_fp_ieee_inexact 0
		.amdhsa_exception_int_div_zero 0
	.end_amdhsa_kernel
	.section	.text._ZN9rocsolver6v33100L11scal_kernelIffiEEvT1_T_PT0_S2_,"axG",@progbits,_ZN9rocsolver6v33100L11scal_kernelIffiEEvT1_T_PT0_S2_,comdat
.Lfunc_end5:
	.size	_ZN9rocsolver6v33100L11scal_kernelIffiEEvT1_T_PT0_S2_, .Lfunc_end5-_ZN9rocsolver6v33100L11scal_kernelIffiEEvT1_T_PT0_S2_
                                        ; -- End function
	.set _ZN9rocsolver6v33100L11scal_kernelIffiEEvT1_T_PT0_S2_.num_vgpr, 5
	.set _ZN9rocsolver6v33100L11scal_kernelIffiEEvT1_T_PT0_S2_.num_agpr, 0
	.set _ZN9rocsolver6v33100L11scal_kernelIffiEEvT1_T_PT0_S2_.numbered_sgpr, 11
	.set _ZN9rocsolver6v33100L11scal_kernelIffiEEvT1_T_PT0_S2_.num_named_barrier, 0
	.set _ZN9rocsolver6v33100L11scal_kernelIffiEEvT1_T_PT0_S2_.private_seg_size, 0
	.set _ZN9rocsolver6v33100L11scal_kernelIffiEEvT1_T_PT0_S2_.uses_vcc, 1
	.set _ZN9rocsolver6v33100L11scal_kernelIffiEEvT1_T_PT0_S2_.uses_flat_scratch, 0
	.set _ZN9rocsolver6v33100L11scal_kernelIffiEEvT1_T_PT0_S2_.has_dyn_sized_stack, 0
	.set _ZN9rocsolver6v33100L11scal_kernelIffiEEvT1_T_PT0_S2_.has_recursion, 0
	.set _ZN9rocsolver6v33100L11scal_kernelIffiEEvT1_T_PT0_S2_.has_indirect_call, 0
	.section	.AMDGPU.csdata,"",@progbits
; Kernel info:
; codeLenInByte = 348
; TotalNumSgprs: 13
; NumVgprs: 5
; ScratchSize: 0
; MemoryBound: 0
; FloatMode: 240
; IeeeMode: 1
; LDSByteSize: 0 bytes/workgroup (compile time only)
; SGPRBlocks: 0
; VGPRBlocks: 0
; NumSGPRsForWavesPerEU: 13
; NumVGPRsForWavesPerEU: 5
; Occupancy: 16
; WaveLimiterHint : 0
; COMPUTE_PGM_RSRC2:SCRATCH_EN: 0
; COMPUTE_PGM_RSRC2:USER_SGPR: 6
; COMPUTE_PGM_RSRC2:TRAP_HANDLER: 0
; COMPUTE_PGM_RSRC2:TGID_X_EN: 1
; COMPUTE_PGM_RSRC2:TGID_Y_EN: 0
; COMPUTE_PGM_RSRC2:TGID_Z_EN: 0
; COMPUTE_PGM_RSRC2:TIDIG_COMP_CNT: 0
	.section	.text._ZN9rocsolver6v33100L17bdsqr_lower2upperIffPfS2_EEviiiPT0_lS4_lT1_iilT2_iilPiS4_lS7_,"axG",@progbits,_ZN9rocsolver6v33100L17bdsqr_lower2upperIffPfS2_EEviiiPT0_lS4_lT1_iilT2_iilPiS4_lS7_,comdat
	.globl	_ZN9rocsolver6v33100L17bdsqr_lower2upperIffPfS2_EEviiiPT0_lS4_lT1_iilT2_iilPiS4_lS7_ ; -- Begin function _ZN9rocsolver6v33100L17bdsqr_lower2upperIffPfS2_EEviiiPT0_lS4_lT1_iilT2_iilPiS4_lS7_
	.p2align	8
	.type	_ZN9rocsolver6v33100L17bdsqr_lower2upperIffPfS2_EEviiiPT0_lS4_lT1_iilT2_iilPiS4_lS7_,@function
_ZN9rocsolver6v33100L17bdsqr_lower2upperIffPfS2_EEviiiPT0_lS4_lT1_iilT2_iilPiS4_lS7_: ; @_ZN9rocsolver6v33100L17bdsqr_lower2upperIffPfS2_EEviiiPT0_lS4_lT1_iilT2_iilPiS4_lS7_
; %bb.0:
	s_load_dwordx2 s[0:1], s[4:5], 0x78
	s_mov_b32 s28, s7
	s_ashr_i32 s29, s7, 31
	s_lshl_b64 s[2:3], s[28:29], 2
	s_waitcnt lgkmcnt(0)
	s_add_u32 s0, s0, s2
	s_addc_u32 s1, s1, s3
	s_load_dword s0, s[0:1], 0x8
	s_waitcnt lgkmcnt(0)
	s_cmp_lg_u32 s0, 0
	s_cbranch_scc1 .LBB6_34
; %bb.1:
	s_clause 0x1
	s_load_dwordx8 s[8:15], s[4:5], 0x30
	s_load_dwordx4 s[24:27], s[4:5], 0x68
	s_mov_b64 s[2:3], 0
	s_mov_b64 s[6:7], 0
	s_waitcnt lgkmcnt(0)
	s_cmp_eq_u64 s[8:9], 0
	s_cbranch_scc1 .LBB6_3
; %bb.2:
	s_mul_i32 s0, s12, s29
	s_mul_hi_u32 s1, s12, s28
	s_mul_i32 s6, s13, s28
	s_add_i32 s0, s1, s0
	s_ashr_i32 s7, s10, 31
	s_add_i32 s1, s0, s6
	s_mul_i32 s0, s12, s28
	s_mov_b32 s6, s10
	s_lshl_b64 s[0:1], s[0:1], 2
	s_add_u32 s8, s8, s0
	s_addc_u32 s9, s9, s1
	s_lshl_b64 s[0:1], s[6:7], 2
	s_add_u32 s6, s8, s0
	s_addc_u32 s7, s9, s1
.LBB6_3:
	s_load_dwordx2 s[0:1], s[4:5], 0x50
	s_cmp_eq_u64 s[14:15], 0
	s_cbranch_scc1 .LBB6_5
; %bb.4:
	s_load_dwordx2 s[2:3], s[4:5], 0x58
	s_waitcnt lgkmcnt(0)
	s_mul_i32 s8, s2, s29
	s_mul_hi_u32 s9, s2, s28
	s_mul_i32 s3, s3, s28
	s_add_i32 s8, s9, s8
	s_mul_i32 s2, s2, s28
	s_add_i32 s3, s8, s3
	s_ashr_i32 s9, s0, 31
	s_lshl_b64 s[2:3], s[2:3], 2
	s_mov_b32 s8, s0
	s_add_u32 s0, s14, s2
	s_addc_u32 s10, s15, s3
	s_lshl_b64 s[2:3], s[8:9], 2
	s_add_u32 s2, s0, s2
	s_addc_u32 s3, s10, s3
.LBB6_5:
	s_load_dwordx4 s[20:23], s[4:5], 0x0
	s_waitcnt lgkmcnt(0)
	s_mul_i32 s0, s26, s29
	s_mul_hi_u32 s8, s26, s28
	s_mov_b32 s10, exec_lo
	s_add_i32 s0, s8, s0
	s_mul_i32 s8, s27, s28
	s_add_i32 s9, s0, s8
	s_mul_i32 s8, s26, s28
	v_cmpx_eq_u32_e32 0, v0
	s_cbranch_execz .LBB6_22
; %bb.6:
	s_load_dwordx8 s[12:19], s[4:5], 0x10
	s_waitcnt lgkmcnt(0)
	s_mul_i32 s0, s14, s29
	s_mul_hi_u32 s23, s14, s28
	s_mul_i32 s15, s15, s28
	s_add_i32 s0, s23, s0
	s_mul_i32 s14, s14, s28
	s_add_i32 s15, s0, s15
	s_lshl_b64 s[30:31], s[14:15], 2
	s_add_u32 s14, s12, s30
	s_addc_u32 s15, s13, s31
	s_add_i32 s26, s20, -1
	s_load_dword s0, s[14:15], 0x0
	s_cmp_lt_i32 s20, 2
	s_waitcnt lgkmcnt(0)
	v_mov_b32_e32 v1, s0
	s_cbranch_scc1 .LBB6_21
; %bb.7:
	s_lshl_b64 s[34:35], s[8:9], 2
	s_mul_i32 s29, s18, s29
	s_mul_hi_u32 s33, s18, s28
	s_add_u32 s23, s24, s34
	s_addc_u32 s27, s25, s35
	s_add_i32 s29, s33, s29
	s_mul_i32 s19, s19, s28
	s_mul_i32 s18, s18, s28
	s_add_i32 s19, s29, s19
	v_mov_b32_e32 v1, s0
	s_lshl_b64 s[18:19], s[18:19], 2
	v_mov_b32_e32 v2, 0
	s_add_u32 s28, s16, s18
	s_addc_u32 s29, s17, s19
	s_or_b32 s18, s22, s21
	s_load_dword s16, s[28:29], 0x0
	s_cmp_lg_u32 s18, 0
	s_mov_b32 s17, 0
	s_cselect_b32 s33, -1, 0
	s_add_u32 s18, s23, 16
	s_addc_u32 s19, s27, 0
	s_add_u32 s0, s12, s30
	s_addc_u32 s13, s13, s31
	;; [unrolled: 2-line block ×4, first 2 shown]
	s_mov_b32 s30, 0
	s_waitcnt lgkmcnt(0)
	v_mov_b32_e32 v3, s16
	s_branch .LBB6_9
.LBB6_8:                                ;   in Loop: Header=BB6_9 Depth=1
	s_add_i32 s30, s30, 1
	s_add_u32 s18, s18, 4
	s_addc_u32 s19, s19, 0
	s_add_u32 s12, s12, 4
	s_waitcnt vmcnt(0)
	v_mul_f32_e32 v1, v4, v1
	s_addc_u32 s13, s13, 0
	s_add_u32 s28, s28, 4
	s_addc_u32 s29, s29, 0
	s_cmp_lg_u32 s26, s30
	s_cbranch_scc0 .LBB6_21
.LBB6_9:                                ; =>This Inner Loop Header: Depth=1
	v_cmp_eq_f32_e32 vcc_lo, 0, v3
	s_cbranch_vccnz .LBB6_13
; %bb.10:                               ;   in Loop: Header=BB6_9 Depth=1
	v_cmp_neq_f32_e32 vcc_lo, 0, v1
	s_cbranch_vccz .LBB6_14
; %bb.11:                               ;   in Loop: Header=BB6_9 Depth=1
	v_cmp_ngt_f32_e64 s0, |v3|, |v1|
	s_and_b32 vcc_lo, exec_lo, s0
	s_cbranch_vccz .LBB6_15
; %bb.12:                               ;   in Loop: Header=BB6_9 Depth=1
	v_div_scale_f32 v4, null, v1, v1, -v3
	v_div_scale_f32 v7, vcc_lo, -v3, v1, -v3
	v_rcp_f32_e32 v5, v4
	v_fma_f32 v6, -v4, v5, 1.0
	v_fmac_f32_e32 v5, v6, v5
	v_mul_f32_e32 v6, v7, v5
	v_fma_f32 v8, -v4, v6, v7
	v_fmac_f32_e32 v6, v8, v5
	v_fma_f32 v4, -v4, v6, v7
	v_div_fmas_f32 v4, v4, v5, v6
	v_div_fixup_f32 v5, v4, v1, -v3
	v_fma_f32 v4, v5, v5, 1.0
	v_mul_f32_e32 v6, 0x4f800000, v4
	v_cmp_gt_f32_e32 vcc_lo, 0xf800000, v4
	v_cndmask_b32_e32 v4, v4, v6, vcc_lo
	v_sqrt_f32_e32 v6, v4
	v_add_nc_u32_e32 v7, -1, v6
	v_add_nc_u32_e32 v8, 1, v6
	v_fma_f32 v9, -v7, v6, v4
	v_fma_f32 v10, -v8, v6, v4
	v_cmp_ge_f32_e64 s0, 0, v9
	v_cndmask_b32_e64 v6, v6, v7, s0
	v_cmp_lt_f32_e64 s0, 0, v10
	v_cndmask_b32_e64 v6, v6, v8, s0
	v_mul_f32_e32 v7, 0x37800000, v6
	v_cndmask_b32_e32 v6, v6, v7, vcc_lo
	v_cmp_class_f32_e64 vcc_lo, v4, 0x260
	v_cndmask_b32_e32 v4, v6, v4, vcc_lo
	v_div_scale_f32 v6, null, v4, v4, 1.0
	v_rcp_f32_e32 v7, v6
	v_fma_f32 v8, -v6, v7, 1.0
	v_fmac_f32_e32 v7, v8, v7
	v_div_scale_f32 v8, vcc_lo, 1.0, v4, 1.0
	v_mul_f32_e32 v9, v8, v7
	v_fma_f32 v10, -v6, v9, v8
	v_fmac_f32_e32 v9, v10, v7
	v_fma_f32 v6, -v6, v9, v8
	v_div_fmas_f32 v6, v6, v7, v9
	v_div_fixup_f32 v4, v6, v4, 1.0
	v_mul_f32_e32 v5, v5, v4
	s_cbranch_execz .LBB6_16
	s_branch .LBB6_17
.LBB6_13:                               ;   in Loop: Header=BB6_9 Depth=1
	v_mov_b32_e32 v4, 1.0
	v_mov_b32_e32 v5, 0
	s_branch .LBB6_19
.LBB6_14:                               ;   in Loop: Header=BB6_9 Depth=1
	v_xor_b32_e32 v1, 0x80000000, v3
                                        ; implicit-def: $vgpr5
                                        ; implicit-def: $vgpr4
	s_cbranch_execnz .LBB6_18
	s_branch .LBB6_19
.LBB6_15:                               ;   in Loop: Header=BB6_9 Depth=1
                                        ; implicit-def: $vgpr5
                                        ; implicit-def: $vgpr4
.LBB6_16:                               ;   in Loop: Header=BB6_9 Depth=1
	v_div_scale_f32 v4, null, v3, v3, -v1
	v_div_scale_f32 v7, vcc_lo, -v1, v3, -v1
	v_rcp_f32_e32 v5, v4
	v_fma_f32 v6, -v4, v5, 1.0
	v_fmac_f32_e32 v5, v6, v5
	v_mul_f32_e32 v6, v7, v5
	v_fma_f32 v8, -v4, v6, v7
	v_fmac_f32_e32 v6, v8, v5
	v_fma_f32 v4, -v4, v6, v7
	v_div_fmas_f32 v4, v4, v5, v6
	v_div_fixup_f32 v4, v4, v3, -v1
	v_fma_f32 v5, v4, v4, 1.0
	v_mul_f32_e32 v6, 0x4f800000, v5
	v_cmp_gt_f32_e32 vcc_lo, 0xf800000, v5
	v_cndmask_b32_e32 v5, v5, v6, vcc_lo
	v_sqrt_f32_e32 v6, v5
	v_add_nc_u32_e32 v7, -1, v6
	v_add_nc_u32_e32 v8, 1, v6
	v_fma_f32 v9, -v7, v6, v5
	v_fma_f32 v10, -v8, v6, v5
	v_cmp_ge_f32_e64 s0, 0, v9
	v_cndmask_b32_e64 v6, v6, v7, s0
	v_cmp_lt_f32_e64 s0, 0, v10
	v_cndmask_b32_e64 v6, v6, v8, s0
	v_mul_f32_e32 v7, 0x37800000, v6
	v_cndmask_b32_e32 v6, v6, v7, vcc_lo
	v_cmp_class_f32_e64 vcc_lo, v5, 0x260
	v_cndmask_b32_e32 v5, v6, v5, vcc_lo
	v_div_scale_f32 v6, null, v5, v5, 1.0
	v_rcp_f32_e32 v7, v6
	v_fma_f32 v8, -v6, v7, 1.0
	v_fmac_f32_e32 v7, v8, v7
	v_div_scale_f32 v8, vcc_lo, 1.0, v5, 1.0
	v_mul_f32_e32 v9, v8, v7
	v_fma_f32 v10, -v6, v9, v8
	v_fmac_f32_e32 v9, v10, v7
	v_fma_f32 v6, -v6, v9, v8
	v_div_fmas_f32 v6, v6, v7, v9
	v_div_fixup_f32 v5, v6, v5, 1.0
	v_mul_f32_e32 v4, v4, v5
.LBB6_17:                               ;   in Loop: Header=BB6_9 Depth=1
	v_mul_f32_e32 v3, v3, v5
	v_fma_f32 v1, v1, v4, -v3
	s_branch .LBB6_19
.LBB6_18:                               ;   in Loop: Header=BB6_9 Depth=1
	v_mov_b32_e32 v4, 0
	v_mov_b32_e32 v5, 1.0
.LBB6_19:                               ;   in Loop: Header=BB6_9 Depth=1
	global_load_dword v6, v2, s[12:13]
	global_store_dword v2, v1, s[12:13] offset:-4
	global_load_dword v3, v2, s[28:29]
	s_andn2_b32 vcc_lo, exec_lo, s33
	s_waitcnt vmcnt(1)
	v_mul_f32_e64 v1, v6, -v5
	global_store_dword v2, v1, s[28:29] offset:-4
	global_load_dword v1, v2, s[12:13]
	s_cbranch_vccnz .LBB6_8
; %bb.20:                               ;   in Loop: Header=BB6_9 Depth=1
	s_add_i32 s16, s20, s30
	s_lshl_b64 s[34:35], s[16:17], 2
	s_add_u32 s34, s23, s34
	s_addc_u32 s35, s27, s35
	global_store_dword v2, v4, s[18:19]
	global_store_dword v2, v5, s[34:35] offset:16
	s_branch .LBB6_8
.LBB6_21:
	s_ashr_i32 s27, s26, 31
	v_mov_b32_e32 v2, 0
	s_lshl_b64 s[12:13], s[26:27], 2
	s_add_u32 s12, s14, s12
	s_addc_u32 s13, s15, s13
	global_store_dword v2, v1, s[12:13]
.LBB6_22:
	s_or_b32 exec_lo, exec_lo, s10
	s_mov_b32 s23, exec_lo
	s_waitcnt_vscnt null, 0x0
	s_barrier
	buffer_gl0_inv
	v_cmpx_gt_i32_e64 s21, v0
	s_cbranch_execz .LBB6_28
; %bb.23:
	s_load_dword s0, s[4:5], 0x8c
	s_add_i32 s28, s20, -1
	s_cmp_gt_i32 s20, 1
	s_mov_b32 s14, s11
	s_mov_b32 s13, 0
	;; [unrolled: 1-line block ×3, first 2 shown]
	s_mul_i32 s18, s11, s28
	s_cselect_b32 s29, -1, 0
	s_ashr_i32 s15, s11, 31
	s_lshl_b64 s[16:17], s[8:9], 2
	s_lshl_b64 s[10:11], s[12:13], 2
	s_ashr_i32 s19, s18, 31
	s_lshl_b64 s[14:15], s[14:15], 2
	v_mov_b32_e32 v6, 0
	v_mov_b32_e32 v1, v0
	s_waitcnt lgkmcnt(0)
	s_and_b32 s12, s0, 0xffff
	s_add_u32 s0, s24, s16
	s_addc_u32 s17, s25, s17
	s_add_u32 s16, s0, 16
	s_addc_u32 s17, s17, 0
	s_lshl_b64 s[18:19], s[18:19], 2
	s_branch .LBB6_25
.LBB6_24:                               ;   in Loop: Header=BB6_25 Depth=1
	v_add_nc_u32_e32 v1, s12, v1
	v_add_co_u32 v2, s0, v2, s18
	v_add_co_ci_u32_e64 v3, null, s19, v3, s0
	v_cmp_le_i32_e32 vcc_lo, s21, v1
	s_waitcnt vmcnt(0)
	global_store_dword v[2:3], v7, off
	s_or_b32 s13, vcc_lo, s13
	s_andn2_b32 exec_lo, exec_lo, s13
	s_cbranch_execz .LBB6_28
.LBB6_25:                               ; =>This Loop Header: Depth=1
                                        ;     Child Loop BB6_27 Depth 2
	v_ashrrev_i32_e32 v2, 31, v1
	v_lshlrev_b64 v[2:3], 2, v[1:2]
	v_add_co_u32 v2, vcc_lo, s6, v2
	v_add_co_ci_u32_e64 v3, null, s7, v3, vcc_lo
	s_andn2_b32 vcc_lo, exec_lo, s29
	global_load_dword v7, v[2:3], off
	s_cbranch_vccnz .LBB6_24
; %bb.26:                               ;   in Loop: Header=BB6_25 Depth=1
	v_mov_b32_e32 v5, v3
	v_mov_b32_e32 v4, v2
	s_mov_b32 s0, s28
	s_mov_b64 s[26:27], s[16:17]
	.p2align	6
.LBB6_27:                               ;   Parent Loop BB6_25 Depth=1
                                        ; =>  This Inner Loop Header: Depth=2
	v_add_co_u32 v8, vcc_lo, v4, s14
	v_add_co_ci_u32_e64 v9, null, s15, v5, vcc_lo
	s_add_u32 s30, s26, s10
	s_addc_u32 s31, s27, s11
	global_load_dword v10, v[8:9], off
	s_clause 0x1
	global_load_dword v11, v6, s[30:31]
	global_load_dword v12, v6, s[26:27]
	s_add_u32 s26, s26, 4
	s_addc_u32 s27, s27, 0
	s_add_i32 s0, s0, -1
	s_cmp_lg_u32 s0, 0
	s_waitcnt vmcnt(1)
	v_mul_f32_e32 v13, v10, v11
	s_waitcnt vmcnt(0)
	v_fma_f32 v13, v7, v12, -v13
	v_mul_f32_e32 v7, v7, v11
	global_store_dword v[4:5], v13, off
	v_mov_b32_e32 v4, v8
	v_fmac_f32_e32 v7, v10, v12
	v_mov_b32_e32 v5, v9
	s_cbranch_scc1 .LBB6_27
	s_branch .LBB6_24
.LBB6_28:
	s_or_b32 exec_lo, exec_lo, s23
	s_mov_b32 s0, exec_lo
	v_cmpx_gt_i32_e64 s22, v0
	s_cbranch_execz .LBB6_34
; %bb.29:
	s_load_dword s0, s[4:5], 0x8c
	s_add_i32 s4, s20, -1
	s_cmp_gt_i32 s20, 1
	v_mul_lo_u32 v1, v0, s1
	s_cselect_b32 s14, -1, 0
	s_lshl_b64 s[6:7], s[8:9], 2
	s_ashr_i32 s5, s4, 31
	v_mov_b32_e32 v7, 0
	s_mov_b32 s21, 0
	s_waitcnt lgkmcnt(0)
	s_and_b32 s15, s0, 0xffff
	s_add_u32 s0, s24, s6
	s_addc_u32 s7, s25, s7
	s_add_u32 s6, s0, 16
	s_addc_u32 s7, s7, 0
	s_add_u32 s17, s2, 4
	s_mul_i32 s16, s1, s15
	s_addc_u32 s18, s3, 0
	s_lshl_b64 s[8:9], s[20:21], 2
	s_lshl_b64 s[10:11], s[4:5], 2
	s_branch .LBB6_31
.LBB6_30:                               ;   in Loop: Header=BB6_31 Depth=1
	v_add_nc_u32_e32 v0, s15, v0
	v_add_co_u32 v2, s0, v3, s10
	v_add_co_ci_u32_e64 v3, null, s11, v4, s0
	v_cmp_le_i32_e32 vcc_lo, s22, v0
	v_add_nc_u32_e32 v1, s16, v1
	s_waitcnt vmcnt(0)
	global_store_dword v[2:3], v8, off
	s_or_b32 s21, vcc_lo, s21
	s_andn2_b32 exec_lo, exec_lo, s21
	s_cbranch_execz .LBB6_34
.LBB6_31:                               ; =>This Loop Header: Depth=1
                                        ;     Child Loop BB6_33 Depth 2
	v_mul_lo_u32 v2, v0, s1
	v_ashrrev_i32_e32 v3, 31, v2
	v_lshlrev_b64 v[3:4], 2, v[2:3]
	v_add_co_u32 v3, vcc_lo, s2, v3
	v_add_co_ci_u32_e64 v4, null, s3, v4, vcc_lo
	s_andn2_b32 vcc_lo, exec_lo, s14
	global_load_dword v8, v[3:4], off
	s_cbranch_vccnz .LBB6_30
; %bb.32:                               ;   in Loop: Header=BB6_31 Depth=1
	v_ashrrev_i32_e32 v2, 31, v1
	s_mov_b32 s0, s4
	s_mov_b64 s[12:13], s[6:7]
	v_lshlrev_b64 v[5:6], 2, v[1:2]
	v_add_co_u32 v5, vcc_lo, s17, v5
	v_add_co_ci_u32_e64 v6, null, s18, v6, vcc_lo
	.p2align	6
.LBB6_33:                               ;   Parent Loop BB6_31 Depth=1
                                        ; =>  This Inner Loop Header: Depth=2
	s_add_u32 s24, s12, s8
	s_addc_u32 s25, s13, s9
	global_load_dword v2, v[5:6], off
	s_clause 0x1
	global_load_dword v9, v7, s[12:13]
	global_load_dword v10, v7, s[24:25]
	s_add_u32 s12, s12, 4
	s_addc_u32 s13, s13, 0
	s_add_i32 s0, s0, -1
	s_cmp_lg_u32 s0, 0
	s_waitcnt vmcnt(0)
	v_mul_f32_e32 v11, v2, v10
	v_fma_f32 v11, v8, v9, -v11
	v_mul_f32_e32 v8, v8, v10
	global_store_dword v[5:6], v11, off offset:-4
	v_add_co_u32 v5, vcc_lo, v5, 4
	v_fmac_f32_e32 v8, v2, v9
	v_add_co_ci_u32_e64 v6, null, 0, v6, vcc_lo
	s_cbranch_scc1 .LBB6_33
	s_branch .LBB6_30
.LBB6_34:
	s_endpgm
	.section	.rodata,"a",@progbits
	.p2align	6, 0x0
	.amdhsa_kernel _ZN9rocsolver6v33100L17bdsqr_lower2upperIffPfS2_EEviiiPT0_lS4_lT1_iilT2_iilPiS4_lS7_
		.amdhsa_group_segment_fixed_size 0
		.amdhsa_private_segment_fixed_size 0
		.amdhsa_kernarg_size 384
		.amdhsa_user_sgpr_count 6
		.amdhsa_user_sgpr_private_segment_buffer 1
		.amdhsa_user_sgpr_dispatch_ptr 0
		.amdhsa_user_sgpr_queue_ptr 0
		.amdhsa_user_sgpr_kernarg_segment_ptr 1
		.amdhsa_user_sgpr_dispatch_id 0
		.amdhsa_user_sgpr_flat_scratch_init 0
		.amdhsa_user_sgpr_private_segment_size 0
		.amdhsa_wavefront_size32 1
		.amdhsa_uses_dynamic_stack 0
		.amdhsa_system_sgpr_private_segment_wavefront_offset 0
		.amdhsa_system_sgpr_workgroup_id_x 1
		.amdhsa_system_sgpr_workgroup_id_y 1
		.amdhsa_system_sgpr_workgroup_id_z 0
		.amdhsa_system_sgpr_workgroup_info 0
		.amdhsa_system_vgpr_workitem_id 0
		.amdhsa_next_free_vgpr 14
		.amdhsa_next_free_sgpr 36
		.amdhsa_reserve_vcc 1
		.amdhsa_reserve_flat_scratch 0
		.amdhsa_float_round_mode_32 0
		.amdhsa_float_round_mode_16_64 0
		.amdhsa_float_denorm_mode_32 3
		.amdhsa_float_denorm_mode_16_64 3
		.amdhsa_dx10_clamp 1
		.amdhsa_ieee_mode 1
		.amdhsa_fp16_overflow 0
		.amdhsa_workgroup_processor_mode 1
		.amdhsa_memory_ordered 1
		.amdhsa_forward_progress 1
		.amdhsa_shared_vgpr_count 0
		.amdhsa_exception_fp_ieee_invalid_op 0
		.amdhsa_exception_fp_denorm_src 0
		.amdhsa_exception_fp_ieee_div_zero 0
		.amdhsa_exception_fp_ieee_overflow 0
		.amdhsa_exception_fp_ieee_underflow 0
		.amdhsa_exception_fp_ieee_inexact 0
		.amdhsa_exception_int_div_zero 0
	.end_amdhsa_kernel
	.section	.text._ZN9rocsolver6v33100L17bdsqr_lower2upperIffPfS2_EEviiiPT0_lS4_lT1_iilT2_iilPiS4_lS7_,"axG",@progbits,_ZN9rocsolver6v33100L17bdsqr_lower2upperIffPfS2_EEviiiPT0_lS4_lT1_iilT2_iilPiS4_lS7_,comdat
.Lfunc_end6:
	.size	_ZN9rocsolver6v33100L17bdsqr_lower2upperIffPfS2_EEviiiPT0_lS4_lT1_iilT2_iilPiS4_lS7_, .Lfunc_end6-_ZN9rocsolver6v33100L17bdsqr_lower2upperIffPfS2_EEviiiPT0_lS4_lT1_iilT2_iilPiS4_lS7_
                                        ; -- End function
	.set _ZN9rocsolver6v33100L17bdsqr_lower2upperIffPfS2_EEviiiPT0_lS4_lT1_iilT2_iilPiS4_lS7_.num_vgpr, 14
	.set _ZN9rocsolver6v33100L17bdsqr_lower2upperIffPfS2_EEviiiPT0_lS4_lT1_iilT2_iilPiS4_lS7_.num_agpr, 0
	.set _ZN9rocsolver6v33100L17bdsqr_lower2upperIffPfS2_EEviiiPT0_lS4_lT1_iilT2_iilPiS4_lS7_.numbered_sgpr, 36
	.set _ZN9rocsolver6v33100L17bdsqr_lower2upperIffPfS2_EEviiiPT0_lS4_lT1_iilT2_iilPiS4_lS7_.num_named_barrier, 0
	.set _ZN9rocsolver6v33100L17bdsqr_lower2upperIffPfS2_EEviiiPT0_lS4_lT1_iilT2_iilPiS4_lS7_.private_seg_size, 0
	.set _ZN9rocsolver6v33100L17bdsqr_lower2upperIffPfS2_EEviiiPT0_lS4_lT1_iilT2_iilPiS4_lS7_.uses_vcc, 1
	.set _ZN9rocsolver6v33100L17bdsqr_lower2upperIffPfS2_EEviiiPT0_lS4_lT1_iilT2_iilPiS4_lS7_.uses_flat_scratch, 0
	.set _ZN9rocsolver6v33100L17bdsqr_lower2upperIffPfS2_EEviiiPT0_lS4_lT1_iilT2_iilPiS4_lS7_.has_dyn_sized_stack, 0
	.set _ZN9rocsolver6v33100L17bdsqr_lower2upperIffPfS2_EEviiiPT0_lS4_lT1_iilT2_iilPiS4_lS7_.has_recursion, 0
	.set _ZN9rocsolver6v33100L17bdsqr_lower2upperIffPfS2_EEviiiPT0_lS4_lT1_iilT2_iilPiS4_lS7_.has_indirect_call, 0
	.section	.AMDGPU.csdata,"",@progbits
; Kernel info:
; codeLenInByte = 2032
; TotalNumSgprs: 38
; NumVgprs: 14
; ScratchSize: 0
; MemoryBound: 0
; FloatMode: 240
; IeeeMode: 1
; LDSByteSize: 0 bytes/workgroup (compile time only)
; SGPRBlocks: 0
; VGPRBlocks: 1
; NumSGPRsForWavesPerEU: 38
; NumVGPRsForWavesPerEU: 14
; Occupancy: 16
; WaveLimiterHint : 0
; COMPUTE_PGM_RSRC2:SCRATCH_EN: 0
; COMPUTE_PGM_RSRC2:USER_SGPR: 6
; COMPUTE_PGM_RSRC2:TRAP_HANDLER: 0
; COMPUTE_PGM_RSRC2:TGID_X_EN: 1
; COMPUTE_PGM_RSRC2:TGID_Y_EN: 1
; COMPUTE_PGM_RSRC2:TGID_Z_EN: 0
; COMPUTE_PGM_RSRC2:TIDIG_COMP_CNT: 0
	.section	.text._ZN9rocsolver6v33100L13bdsqr_computeILi256EffPfS2_S2_EEviiiiPT1_lS4_lT2_iilT3_iilT4_iiliS3_S3_S3_S3_PiS4_ilS8_,"axG",@progbits,_ZN9rocsolver6v33100L13bdsqr_computeILi256EffPfS2_S2_EEviiiiPT1_lS4_lT2_iilT3_iilT4_iiliS3_S3_S3_S3_PiS4_ilS8_,comdat
	.globl	_ZN9rocsolver6v33100L13bdsqr_computeILi256EffPfS2_S2_EEviiiiPT1_lS4_lT2_iilT3_iilT4_iiliS3_S3_S3_S3_PiS4_ilS8_ ; -- Begin function _ZN9rocsolver6v33100L13bdsqr_computeILi256EffPfS2_S2_EEviiiiPT1_lS4_lT2_iilT3_iilT4_iiliS3_S3_S3_S3_PiS4_ilS8_
	.p2align	8
	.type	_ZN9rocsolver6v33100L13bdsqr_computeILi256EffPfS2_S2_EEviiiiPT1_lS4_lT2_iilT3_iilT4_iiliS3_S3_S3_S3_PiS4_ilS8_,@function
_ZN9rocsolver6v33100L13bdsqr_computeILi256EffPfS2_S2_EEviiiiPT1_lS4_lT2_iilT3_iilT4_iiliS3_S3_S3_S3_PiS4_ilS8_: ; @_ZN9rocsolver6v33100L13bdsqr_computeILi256EffPfS2_S2_EEviiiiPT1_lS4_lT2_iilT3_iilT4_iiliS3_S3_S3_S3_PiS4_ilS8_
; %bb.0:
	s_load_dwordx4 s[0:3], s[4:5], 0xa8
	s_ashr_i32 s9, s8, 31
	s_lshl_b64 s[10:11], s[8:9], 2
	s_waitcnt lgkmcnt(0)
	s_add_u32 s2, s2, s10
	s_addc_u32 s3, s3, s11
	s_load_dword s2, s[2:3], 0x8
	s_waitcnt lgkmcnt(0)
	s_cmp_lg_u32 s2, 0
	s_cbranch_scc1 .LBB7_172
; %bb.1:
	s_load_dwordx8 s[12:19], s[4:5], 0x30
	s_mov_b64 s[10:11], 0
	s_mov_b64 s[34:35], 0
	s_waitcnt lgkmcnt(0)
	s_cmp_eq_u64 s[12:13], 0
	s_cbranch_scc1 .LBB7_3
; %bb.2:
	s_mul_i32 s2, s16, s9
	s_mul_hi_u32 s3, s16, s8
	s_mul_i32 s6, s17, s8
	s_add_i32 s2, s3, s2
	s_ashr_i32 s17, s14, 31
	s_add_i32 s3, s2, s6
	s_mul_i32 s2, s16, s8
	s_mov_b32 s16, s14
	s_lshl_b64 s[2:3], s[2:3], 2
	s_add_u32 s6, s12, s2
	s_addc_u32 s12, s13, s3
	s_lshl_b64 s[2:3], s[16:17], 2
	s_add_u32 s34, s6, s2
	s_addc_u32 s35, s12, s3
.LBB7_3:
	s_clause 0x1
	s_load_dwordx2 s[12:13], s[4:5], 0x50
	s_load_dwordx4 s[20:23], s[4:5], 0x58
	s_cmp_eq_u64 s[18:19], 0
	s_cbranch_scc1 .LBB7_5
; %bb.4:
	s_waitcnt lgkmcnt(0)
	s_mul_i32 s2, s20, s9
	s_mul_hi_u32 s3, s20, s8
	s_mul_i32 s6, s21, s8
	s_add_i32 s2, s3, s2
	s_ashr_i32 s11, s12, 31
	s_add_i32 s3, s2, s6
	s_mul_i32 s2, s20, s8
	s_mov_b32 s10, s12
	s_lshl_b64 s[2:3], s[2:3], 2
	s_add_u32 s6, s18, s2
	s_addc_u32 s12, s19, s3
	s_lshl_b64 s[2:3], s[10:11], 2
	s_add_u32 s10, s6, s2
	s_addc_u32 s11, s12, s3
.LBB7_5:
	s_load_dwordx2 s[36:37], s[4:5], 0x68
	s_waitcnt lgkmcnt(0)
	s_cmp_eq_u64 s[22:23], 0
	s_mov_b64 s[38:39], 0
	s_cbranch_scc1 .LBB7_7
; %bb.6:
	s_load_dwordx2 s[2:3], s[4:5], 0x70
	s_ashr_i32 s17, s36, 31
	s_mov_b32 s16, s36
	s_waitcnt lgkmcnt(0)
	s_mul_i32 s6, s2, s9
	s_mul_hi_u32 s12, s2, s8
	s_mul_i32 s3, s3, s8
	s_add_i32 s6, s12, s6
	s_mul_i32 s2, s2, s8
	s_add_i32 s3, s6, s3
	s_lshl_b64 s[2:3], s[2:3], 2
	s_add_u32 s6, s22, s2
	s_addc_u32 s12, s23, s3
	s_lshl_b64 s[2:3], s[16:17], 2
	s_add_u32 s38, s6, s2
	s_addc_u32 s39, s12, s3
.LBB7_7:
	s_load_dwordx4 s[28:31], s[4:5], 0x90
	s_mul_i32 s2, s0, s9
	s_mul_hi_u32 s3, s0, s8
	s_mul_i32 s1, s1, s8
	s_add_i32 s2, s3, s2
	s_mul_i32 s0, s0, s8
	s_add_i32 s1, s2, s1
	s_lshl_b64 s[42:43], s[0:1], 2
	s_waitcnt lgkmcnt(0)
	s_add_u32 s40, s30, s42
	s_addc_u32 s41, s31, s43
	s_load_dword s0, s[40:41], 0x8
	s_waitcnt lgkmcnt(0)
	v_cvt_i32_f32_e32 v6, s0
	v_cmp_ge_i32_e32 vcc_lo, s7, v6
	s_cbranch_vccnz .LBB7_172
; %bb.8:
	s_clause 0x1
	s_load_dwordx4 s[24:27], s[4:5], 0x0
	s_load_dwordx8 s[16:23], s[4:5], 0x10
	v_lshlrev_b32_e32 v7, 2, v0
                                        ; implicit-def: $vgpr27 : SGPR spill to VGPR lane
	v_mul_lo_u32 v9, v0, s15
	v_mul_lo_u32 v10, v0, s37
	v_mov_b32_e32 v8, 0
	v_mov_b32_e32 v15, 1
	s_waitcnt lgkmcnt(0)
	s_mul_i32 s0, s8, s24
	s_mul_i32 s3, s18, s9
	s_lshl_b32 s0, s0, 1
	s_mul_hi_u32 s6, s18, s8
	s_ashr_i32 s1, s0, 31
	s_mul_i32 s19, s19, s8
	s_lshl_b64 s[0:1], s[0:1], 2
	s_mul_i32 s2, s18, s8
	s_add_u32 s12, s28, s0
	s_addc_u32 s14, s29, s1
	s_add_i32 s0, s6, s3
	s_mul_i32 s6, s22, s9
	s_add_i32 s3, s0, s19
	s_mul_hi_u32 s9, s22, s8
	s_lshl_b64 s[0:1], s[2:3], 2
	s_mul_i32 s2, s23, s8
	s_add_u32 s24, s16, s0
	s_addc_u32 s33, s17, s1
	s_add_i32 s0, s9, s6
	s_mul_i32 s16, s22, s8
	s_add_i32 s17, s0, s2
	s_clause 0x3
	s_load_dwordx2 s[18:19], s[4:5], 0x78
	s_load_dwordx2 s[22:23], s[4:5], 0x84
	s_load_dword s74, s[4:5], 0xa0
	s_load_dword s75, s[4:5], 0xbc
	s_lshl_b64 s[2:3], s[16:17], 2
	v_cmp_gt_u32_e64 s0, 0x80, v0
	s_add_u32 s36, s20, s2
	s_addc_u32 s72, s21, s3
	s_cmp_lg_u32 s25, 0
	v_add_co_u32 v13, s8, s36, v7
	s_cselect_b32 s73, -1, 0
	s_or_b32 s6, s27, s26
	v_cmp_gt_u32_e64 s1, 64, v0
	s_cmp_eq_u32 s6, 0
	v_cmp_gt_u32_e64 s2, 32, v0
	s_cselect_b32 s76, -1, 0
	s_cmp_lg_u64 s[34:35], 0
	v_cmp_eq_u32_e64 s3, 0, v0
	s_cselect_b32 s6, -1, 0
	v_cmp_gt_i32_e64 s87, s25, v0
	s_and_b32 s77, s73, s6
	s_add_u32 s28, s4, 0xb8
	s_addc_u32 s29, s5, 0
	s_cmp_lg_u64 s[10:11], 0
	v_cmp_gt_i32_e64 s86, s26, v0
	s_cselect_b32 s4, -1, 0
	s_cmp_lg_u32 s26, 0
	v_cmp_gt_i32_e64 s6, s27, v0
	s_cselect_b32 s5, -1, 0
	v_add_co_ci_u32_e64 v14, null, s72, 0, s8
	s_and_b32 s78, s5, s4
	s_cmp_lg_u64 s[38:39], 0
	v_add_co_u32 v11, s5, s24, v7
	s_cselect_b32 s4, -1, 0
	s_cmp_lg_u32 s27, 0
	v_add_co_ci_u32_e64 v12, null, s33, 0, s5
	s_cselect_b32 s5, -1, 0
	s_and_b32 s80, s5, s4
	s_add_u32 s5, s30, s42
	s_addc_u32 s81, s31, s43
	s_add_u32 s82, s5, 12
	s_addc_u32 s83, s81, 0
	s_add_u32 s4, s20, -4
	v_writelane_b32 v27, s4, 0
	s_addc_u32 s4, s21, -1
	v_writelane_b32 v27, s4, 1
	s_add_u32 s4, s36, -4
	v_writelane_b32 v27, s4, 2
	s_addc_u32 s4, s72, -1
	v_writelane_b32 v27, s4, 3
	s_add_u32 s4, s24, -4
	v_writelane_b32 v27, s4, 4
	s_addc_u32 s4, s33, -1
	s_add_u32 s88, s5, 20
	s_addc_u32 s92, s81, 0
	s_add_u32 s93, s5, 16
	v_writelane_b32 v27, s4, 5
	s_addc_u32 s91, s81, 0
	v_writelane_b32 v27, s5, 6
	s_branch .LBB7_11
.LBB7_9:                                ;   in Loop: Header=BB7_11 Depth=1
	s_or_b32 exec_lo, exec_lo, s9
.LBB7_10:                               ;   in Loop: Header=BB7_11 Depth=1
	s_waitcnt lgkmcnt(0)
	s_add_i32 s7, s75, s7
	v_cmp_lt_i32_e32 vcc_lo, s7, v6
	s_cbranch_vccz .LBB7_172
.LBB7_11:                               ; =>This Loop Header: Depth=1
                                        ;     Child Loop BB7_15 Depth 2
                                        ;     Child Loop BB7_40 Depth 2
	;; [unrolled: 1-line block ×5, first 2 shown]
                                        ;       Child Loop BB7_158 Depth 3
                                        ;     Child Loop BB7_163 Depth 2
                                        ;       Child Loop BB7_164 Depth 3
                                        ;     Child Loop BB7_169 Depth 2
                                        ;       Child Loop BB7_170 Depth 3
	s_lshl_b32 s8, s7, 2
	s_ashr_i32 s9, s8, 31
	s_lshl_b64 s[8:9], s[8:9], 2
	s_add_u32 s48, s12, s8
	s_addc_u32 s49, s14, s9
	global_load_dwordx2 v[1:2], v8, s[48:49] offset:4
	s_waitcnt vmcnt(0)
	v_readfirstlane_b32 s30, v2
	v_readfirstlane_b32 s42, v1
	s_cmp_le_i32 s30, s42
	s_cbranch_scc1 .LBB7_10
; %bb.12:                               ;   in Loop: Header=BB7_11 Depth=1
	global_load_dword v1, v8, s[48:49] offset:12
	s_waitcnt vmcnt(0) lgkmcnt(0)
	v_cmp_le_i32_e32 vcc_lo, s18, v1
	s_cbranch_vccnz .LBB7_10
; %bb.13:                               ;   in Loop: Header=BB7_11 Depth=1
	v_mov_b32_e32 v3, 0
	s_sub_i32 s20, s30, s42
	s_ashr_i32 s43, s42, 31
	s_mov_b32 s9, exec_lo
	v_cmpx_ge_i32_e64 s20, v0
	s_cbranch_execz .LBB7_17
; %bb.14:                               ;   in Loop: Header=BB7_11 Depth=1
	s_lshl_b64 s[44:45], s[42:43], 2
	v_mov_b32_e32 v3, 0
	v_add_co_u32 v1, vcc_lo, v11, s44
	v_add_co_ci_u32_e64 v2, null, s45, v12, vcc_lo
	v_mov_b32_e32 v4, v0
	s_mov_b32 s21, 0
	.p2align	6
.LBB7_15:                               ;   Parent Loop BB7_11 Depth=1
                                        ; =>  This Inner Loop Header: Depth=2
	global_load_dword v5, v[1:2], off
	v_add_nc_u32_e32 v4, 0x100, v4
	v_add_co_u32 v1, vcc_lo, 0x400, v1
	v_add_co_ci_u32_e64 v2, null, 0, v2, vcc_lo
	v_cmp_lt_i32_e64 s8, s20, v4
	s_or_b32 s21, s8, s21
	s_waitcnt vmcnt(0)
	v_cmp_lt_f32_e64 s4, v3, |v5|
	v_cndmask_b32_e64 v3, v3, |v5|, s4
	s_andn2_b32 exec_lo, exec_lo, s21
	s_cbranch_execnz .LBB7_15
; %bb.16:                               ;   in Loop: Header=BB7_11 Depth=1
	s_or_b32 exec_lo, exec_lo, s21
.LBB7_17:                               ;   in Loop: Header=BB7_11 Depth=1
	s_or_b32 exec_lo, exec_lo, s9
	ds_write_b32 v7, v3
	s_waitcnt lgkmcnt(0)
	s_barrier
	buffer_gl0_inv
	s_and_saveexec_b32 s8, s0
	s_cbranch_execz .LBB7_21
; %bb.18:                               ;   in Loop: Header=BB7_11 Depth=1
	ds_read_b32 v1, v7 offset:512
	s_mov_b32 s9, exec_lo
	s_waitcnt lgkmcnt(0)
	v_cmpx_lt_f32_e32 v3, v1
; %bb.19:                               ;   in Loop: Header=BB7_11 Depth=1
	v_mov_b32_e32 v3, v1
	ds_write_b32 v7, v1
; %bb.20:                               ;   in Loop: Header=BB7_11 Depth=1
	s_or_b32 exec_lo, exec_lo, s9
.LBB7_21:                               ;   in Loop: Header=BB7_11 Depth=1
	s_or_b32 exec_lo, exec_lo, s8
	s_waitcnt lgkmcnt(0)
	s_barrier
	buffer_gl0_inv
	s_and_saveexec_b32 s8, s1
	s_cbranch_execz .LBB7_25
; %bb.22:                               ;   in Loop: Header=BB7_11 Depth=1
	ds_read_b32 v1, v7 offset:256
	s_mov_b32 s9, exec_lo
	s_waitcnt lgkmcnt(0)
	v_cmpx_lt_f32_e32 v3, v1
; %bb.23:                               ;   in Loop: Header=BB7_11 Depth=1
	v_mov_b32_e32 v3, v1
	ds_write_b32 v7, v1
; %bb.24:                               ;   in Loop: Header=BB7_11 Depth=1
	s_or_b32 exec_lo, exec_lo, s9
.LBB7_25:                               ;   in Loop: Header=BB7_11 Depth=1
	s_or_b32 exec_lo, exec_lo, s8
	s_waitcnt lgkmcnt(0)
	s_barrier
	buffer_gl0_inv
	s_and_saveexec_b32 s8, s2
	s_cbranch_execz .LBB7_38
; %bb.26:                               ;   in Loop: Header=BB7_11 Depth=1
	ds_read_b32 v1, v7 offset:128
	s_mov_b32 s9, exec_lo
	s_waitcnt lgkmcnt(0)
	v_cmpx_lt_f32_e32 v3, v1
; %bb.27:                               ;   in Loop: Header=BB7_11 Depth=1
	v_mov_b32_e32 v3, v1
	ds_write_b32 v7, v1
; %bb.28:                               ;   in Loop: Header=BB7_11 Depth=1
	s_or_b32 exec_lo, exec_lo, s9
	ds_read_b32 v1, v7 offset:64
	s_mov_b32 s9, exec_lo
	s_waitcnt lgkmcnt(0)
	v_cmpx_lt_f32_e32 v3, v1
; %bb.29:                               ;   in Loop: Header=BB7_11 Depth=1
	v_mov_b32_e32 v3, v1
	ds_write_b32 v7, v1
; %bb.30:                               ;   in Loop: Header=BB7_11 Depth=1
	s_or_b32 exec_lo, exec_lo, s9
	ds_read_b32 v1, v7 offset:32
	s_mov_b32 s9, exec_lo
	s_waitcnt lgkmcnt(0)
	v_cmpx_lt_f32_e32 v3, v1
; %bb.31:                               ;   in Loop: Header=BB7_11 Depth=1
	v_mov_b32_e32 v3, v1
	ds_write_b32 v7, v1
; %bb.32:                               ;   in Loop: Header=BB7_11 Depth=1
	s_or_b32 exec_lo, exec_lo, s9
	ds_read_b32 v1, v7 offset:16
	s_mov_b32 s9, exec_lo
	s_waitcnt lgkmcnt(0)
	v_cmpx_lt_f32_e32 v3, v1
; %bb.33:                               ;   in Loop: Header=BB7_11 Depth=1
	v_mov_b32_e32 v3, v1
	ds_write_b32 v7, v1
; %bb.34:                               ;   in Loop: Header=BB7_11 Depth=1
	s_or_b32 exec_lo, exec_lo, s9
	ds_read_b32 v1, v7 offset:8
	s_mov_b32 s9, exec_lo
	s_waitcnt lgkmcnt(0)
	v_cmpx_lt_f32_e32 v3, v1
; %bb.35:                               ;   in Loop: Header=BB7_11 Depth=1
	v_mov_b32_e32 v3, v1
	ds_write_b32 v7, v1
; %bb.36:                               ;   in Loop: Header=BB7_11 Depth=1
	s_or_b32 exec_lo, exec_lo, s9
	ds_read_b32 v1, v7 offset:4
	s_waitcnt lgkmcnt(0)
	v_cmp_lt_f32_e32 vcc_lo, v3, v1
	s_and_b32 exec_lo, exec_lo, vcc_lo
; %bb.37:                               ;   in Loop: Header=BB7_11 Depth=1
	ds_write_b32 v7, v1
.LBB7_38:                               ;   in Loop: Header=BB7_11 Depth=1
	s_or_b32 exec_lo, exec_lo, s8
	v_mov_b32_e32 v3, 0
	s_mov_b32 s9, exec_lo
	s_waitcnt lgkmcnt(0)
	s_barrier
	buffer_gl0_inv
	v_cmpx_gt_i32_e64 s20, v0
	s_cbranch_execz .LBB7_42
; %bb.39:                               ;   in Loop: Header=BB7_11 Depth=1
	s_lshl_b64 s[44:45], s[42:43], 2
	v_mov_b32_e32 v3, 0
	v_add_co_u32 v1, vcc_lo, v13, s44
	v_add_co_ci_u32_e64 v2, null, s45, v14, vcc_lo
	v_mov_b32_e32 v4, v0
	s_mov_b32 s21, 0
	.p2align	6
.LBB7_40:                               ;   Parent Loop BB7_11 Depth=1
                                        ; =>  This Inner Loop Header: Depth=2
	global_load_dword v5, v[1:2], off
	v_add_nc_u32_e32 v4, 0x100, v4
	v_add_co_u32 v1, vcc_lo, 0x400, v1
	v_add_co_ci_u32_e64 v2, null, 0, v2, vcc_lo
	v_cmp_le_i32_e64 s8, s20, v4
	s_or_b32 s21, s8, s21
	s_waitcnt vmcnt(0)
	v_cmp_lt_f32_e64 s4, v3, |v5|
	v_cndmask_b32_e64 v3, v3, |v5|, s4
	s_andn2_b32 exec_lo, exec_lo, s21
	s_cbranch_execnz .LBB7_40
; %bb.41:                               ;   in Loop: Header=BB7_11 Depth=1
	s_or_b32 exec_lo, exec_lo, s21
.LBB7_42:                               ;   in Loop: Header=BB7_11 Depth=1
	s_or_b32 exec_lo, exec_lo, s9
	s_cmp_lt_i32 s20, 2
	ds_write_b32 v7, v3 offset:4
	s_waitcnt lgkmcnt(0)
	s_barrier
	buffer_gl0_inv
	s_cbranch_scc1 .LBB7_65
; %bb.43:                               ;   in Loop: Header=BB7_11 Depth=1
	s_and_saveexec_b32 s8, s0
	s_cbranch_execz .LBB7_47
; %bb.44:                               ;   in Loop: Header=BB7_11 Depth=1
	ds_read_b32 v1, v7 offset:516
	s_mov_b32 s9, exec_lo
	s_waitcnt lgkmcnt(0)
	v_cmpx_lt_f32_e32 v3, v1
; %bb.45:                               ;   in Loop: Header=BB7_11 Depth=1
	v_mov_b32_e32 v3, v1
	ds_write_b32 v7, v1 offset:4
; %bb.46:                               ;   in Loop: Header=BB7_11 Depth=1
	s_or_b32 exec_lo, exec_lo, s9
.LBB7_47:                               ;   in Loop: Header=BB7_11 Depth=1
	s_or_b32 exec_lo, exec_lo, s8
	s_waitcnt lgkmcnt(0)
	s_barrier
	buffer_gl0_inv
	s_and_saveexec_b32 s8, s1
	s_cbranch_execz .LBB7_51
; %bb.48:                               ;   in Loop: Header=BB7_11 Depth=1
	ds_read_b32 v1, v7 offset:260
	s_mov_b32 s9, exec_lo
	s_waitcnt lgkmcnt(0)
	v_cmpx_lt_f32_e32 v3, v1
; %bb.49:                               ;   in Loop: Header=BB7_11 Depth=1
	v_mov_b32_e32 v3, v1
	ds_write_b32 v7, v1 offset:4
; %bb.50:                               ;   in Loop: Header=BB7_11 Depth=1
	s_or_b32 exec_lo, exec_lo, s9
.LBB7_51:                               ;   in Loop: Header=BB7_11 Depth=1
	s_or_b32 exec_lo, exec_lo, s8
	s_waitcnt lgkmcnt(0)
	s_barrier
	buffer_gl0_inv
	s_and_saveexec_b32 s8, s2
	s_cbranch_execz .LBB7_64
; %bb.52:                               ;   in Loop: Header=BB7_11 Depth=1
	ds_read_b32 v1, v7 offset:132
	s_mov_b32 s9, exec_lo
	s_waitcnt lgkmcnt(0)
	v_cmpx_lt_f32_e32 v3, v1
; %bb.53:                               ;   in Loop: Header=BB7_11 Depth=1
	v_mov_b32_e32 v3, v1
	ds_write_b32 v7, v1 offset:4
; %bb.54:                               ;   in Loop: Header=BB7_11 Depth=1
	s_or_b32 exec_lo, exec_lo, s9
	ds_read_b32 v1, v7 offset:68
	s_mov_b32 s9, exec_lo
	s_waitcnt lgkmcnt(0)
	v_cmpx_lt_f32_e32 v3, v1
; %bb.55:                               ;   in Loop: Header=BB7_11 Depth=1
	v_mov_b32_e32 v3, v1
	ds_write_b32 v7, v1 offset:4
; %bb.56:                               ;   in Loop: Header=BB7_11 Depth=1
	s_or_b32 exec_lo, exec_lo, s9
	ds_read_b32 v1, v7 offset:36
	s_mov_b32 s9, exec_lo
	s_waitcnt lgkmcnt(0)
	v_cmpx_lt_f32_e32 v3, v1
; %bb.57:                               ;   in Loop: Header=BB7_11 Depth=1
	v_mov_b32_e32 v3, v1
	ds_write_b32 v7, v1 offset:4
; %bb.58:                               ;   in Loop: Header=BB7_11 Depth=1
	s_or_b32 exec_lo, exec_lo, s9
	ds_read_b32 v1, v7 offset:20
	s_mov_b32 s9, exec_lo
	s_waitcnt lgkmcnt(0)
	v_cmpx_lt_f32_e32 v3, v1
; %bb.59:                               ;   in Loop: Header=BB7_11 Depth=1
	v_mov_b32_e32 v3, v1
	ds_write_b32 v7, v1 offset:4
; %bb.60:                               ;   in Loop: Header=BB7_11 Depth=1
	s_or_b32 exec_lo, exec_lo, s9
	ds_read_b32 v1, v7 offset:12
	s_mov_b32 s9, exec_lo
	s_waitcnt lgkmcnt(0)
	v_cmpx_lt_f32_e32 v3, v1
; %bb.61:                               ;   in Loop: Header=BB7_11 Depth=1
	v_mov_b32_e32 v3, v1
	ds_write_b32 v7, v1 offset:4
; %bb.62:                               ;   in Loop: Header=BB7_11 Depth=1
	s_or_b32 exec_lo, exec_lo, s9
	ds_read_b32 v1, v7 offset:8
	s_waitcnt lgkmcnt(0)
	v_cmp_lt_f32_e32 vcc_lo, v3, v1
	s_and_b32 exec_lo, exec_lo, vcc_lo
; %bb.63:                               ;   in Loop: Header=BB7_11 Depth=1
	ds_write_b32 v7, v1 offset:4
.LBB7_64:                               ;   in Loop: Header=BB7_11 Depth=1
	s_or_b32 exec_lo, exec_lo, s8
.LBB7_65:                               ;   in Loop: Header=BB7_11 Depth=1
	s_lshl_b64 s[44:45], s[42:43], 2
	s_waitcnt lgkmcnt(0)
	s_add_u32 s9, s36, s44
	s_addc_u32 s94, s72, s45
	s_add_u32 s58, s24, s44
	s_addc_u32 s59, s33, s45
	s_barrier
	buffer_gl0_inv
	s_and_saveexec_b32 s50, s3
	s_cbranch_execz .LBB7_79
; %bb.66:                               ;   in Loop: Header=BB7_11 Depth=1
	s_ashr_i32 s31, s30, 31
	s_lshl_b64 s[46:47], s[30:31], 2
	s_mov_b32 s31, 0
	s_add_u32 s46, s24, s46
	s_addc_u32 s47, s33, s47
	s_clause 0x1
	global_load_dword v1, v8, s[58:59]
	global_load_dword v2, v8, s[46:47]
	s_ashr_i32 s21, s20, 31
	s_lshl_b64 s[46:47], s[20:21], 2
	s_add_u32 s4, s58, s46
	s_addc_u32 s5, s59, s47
	s_waitcnt vmcnt(0)
	v_cmp_ge_f32_e64 s8, |v1|, |v2|
	v_and_b32_e32 v1, 0x7fffffff, v1
	v_and_b32_e32 v2, 0x7fffffff, v2
	s_and_b32 s21, s8, exec_lo
	s_cselect_b32 s47, s59, s5
	s_cselect_b32 s46, s58, s4
	v_cndmask_b32_e64 v5, 0, 1, s8
	global_load_dword v3, v8, s[46:47]
	s_not_b32 s4, s42
	s_add_i32 s21, s4, s30
	ds_write_b32 v8, v5 offset:1028
	s_waitcnt vmcnt(0)
	v_and_b32_e32 v3, 0x7fffffff, v3
	v_mov_b32_e32 v4, v3
	s_branch .LBB7_68
.LBB7_67:                               ;   in Loop: Header=BB7_68 Depth=2
	s_add_i32 s31, s31, 1
	s_and_b32 s4, s8, exec_lo
	s_cselect_b32 s52, s31, s21
	v_add_f32_e64 v5, v4, |v5|
	s_ashr_i32 s53, s52, 31
	s_mov_b32 s51, 0
	s_lshl_b64 s[52:53], s[52:53], 2
	v_div_scale_f32 v17, null, v5, v5, v4
	s_add_u32 s52, s58, s52
	s_addc_u32 s53, s59, s53
	v_div_scale_f32 v20, vcc_lo, v4, v5, v4
	global_load_dword v16, v8, s[52:53]
	v_rcp_f32_e32 v18, v17
	s_add_i32 s21, s21, -1
	s_cmp_eq_u32 s21, -1
	s_cselect_b32 s52, -1, 0
	v_fma_f32 v19, -v17, v18, 1.0
	v_fmac_f32_e32 v18, v19, v18
	v_mul_f32_e32 v19, v20, v18
	v_fma_f32 v21, -v17, v19, v20
	v_fmac_f32_e32 v19, v21, v18
	v_fma_f32 v17, -v17, v19, v20
	v_div_fmas_f32 v17, v17, v18, v19
	v_div_fixup_f32 v4, v17, v5, v4
	s_waitcnt vmcnt(0)
	v_mul_f32_e64 v4, v4, |v16|
	v_cmp_lt_f32_e32 vcc_lo, v4, v3
	v_cndmask_b32_e32 v3, v3, v4, vcc_lo
	s_andn2_b32 vcc_lo, exec_lo, s52
	s_cbranch_vccz .LBB7_70
.LBB7_68:                               ;   Parent Loop BB7_11 Depth=1
                                        ; =>  This Inner Loop Header: Depth=2
	s_and_b32 s4, s8, exec_lo
	s_cselect_b32 s46, s31, s21
	v_mul_f32_e32 v16, s22, v4
	s_ashr_i32 s47, s46, 31
	s_lshl_b64 s[46:47], s[46:47], 2
	s_add_u32 s46, s9, s46
	s_addc_u32 s47, s94, s47
	global_load_dword v5, v8, s[46:47]
	s_waitcnt vmcnt(0)
	v_cmp_nle_f32_e64 s4, |v5|, v16
	s_and_b32 vcc_lo, exec_lo, s4
	s_cbranch_vccnz .LBB7_67
; %bb.69:                               ;   in Loop: Header=BB7_11 Depth=1
	s_mov_b32 s51, -1
                                        ; implicit-def: $vgpr4
                                        ; implicit-def: $sgpr21
                                        ; implicit-def: $sgpr31
                                        ; implicit-def: $vgpr3
.LBB7_70:                               ;   in Loop: Header=BB7_11 Depth=1
	s_and_b32 vcc_lo, exec_lo, s51
	s_cbranch_vccz .LBB7_72
; %bb.71:                               ;   in Loop: Header=BB7_11 Depth=1
	v_mov_b32_e32 v3, -1.0
	global_store_dword v8, v8, s[46:47]
.LBB7_72:                               ;   in Loop: Header=BB7_11 Depth=1
	v_cmp_nle_f32_e32 vcc_lo, 0, v3
	ds_write_b32 v8, v3 offset:1032
	ds_write_b8 v8, v8 offset:1036
	s_cbranch_vccnz .LBB7_79
; %bb.73:                               ;   in Loop: Header=BB7_11 Depth=1
	ds_read_b64 v[4:5], v8
	s_mov_b32 s21, -1
	s_waitcnt lgkmcnt(0)
	v_cmp_lt_f32_e32 vcc_lo, v4, v5
	v_cndmask_b32_e32 v4, v4, v5, vcc_lo
	v_div_scale_f32 v5, null, v4, v4, v3
	v_rcp_f32_e32 v16, v5
	v_fma_f32 v17, -v5, v16, 1.0
	v_fmac_f32_e32 v16, v17, v16
	v_div_scale_f32 v17, vcc_lo, v3, v4, v3
	v_mul_f32_e32 v18, v17, v16
	v_fma_f32 v19, -v5, v18, v17
	v_fmac_f32_e32 v18, v19, v16
	v_fma_f32 v5, -v5, v18, v17
	v_div_fmas_f32 v5, v5, v16, v18
	v_div_fixup_f32 v4, v5, v4, v3
	v_cmp_ge_f32_e32 vcc_lo, s23, v4
	s_cbranch_vccnz .LBB7_76
; %bb.74:                               ;   in Loop: Header=BB7_11 Depth=1
	v_cndmask_b32_e64 v1, v2, v1, s8
	s_mov_b32 s21, 0
	v_cmp_lt_f32_e32 vcc_lo, 0, v1
	s_cbranch_vccz .LBB7_76
; %bb.75:                               ;   in Loop: Header=BB7_11 Depth=1
	v_mul_f32_e32 v2, v3, v3
	v_div_scale_f32 v3, null, v1, v1, v2
	v_div_scale_f32 v16, vcc_lo, v2, v1, v2
	v_rcp_f32_e32 v4, v3
	v_fma_f32 v5, -v3, v4, 1.0
	v_fmac_f32_e32 v4, v5, v4
	v_mul_f32_e32 v5, v16, v4
	v_fma_f32 v17, -v3, v5, v16
	v_fmac_f32_e32 v5, v17, v4
	v_fma_f32 v3, -v3, v5, v16
	v_div_fmas_f32 v3, v3, v4, v5
	v_div_fixup_f32 v2, v3, v1, v2
	v_div_scale_f32 v3, null, v1, v1, v2
	v_rcp_f32_e32 v4, v3
	v_fma_f32 v5, -v3, v4, 1.0
	v_fmac_f32_e32 v4, v5, v4
	v_div_scale_f32 v5, vcc_lo, v2, v1, v2
	v_mul_f32_e32 v16, v5, v4
	v_fma_f32 v17, -v3, v16, v5
	v_fmac_f32_e32 v16, v17, v4
	v_fma_f32 v3, -v3, v16, v5
	v_div_fmas_f32 v3, v3, v4, v16
	v_div_fixup_f32 v1, v3, v1, v2
	v_cmp_gt_f32_e64 s21, s19, v1
.LBB7_76:                               ;   in Loop: Header=BB7_11 Depth=1
	s_and_b32 vcc_lo, exec_lo, s21
	s_cbranch_vccz .LBB7_78
; %bb.77:                               ;   in Loop: Header=BB7_11 Depth=1
	ds_write_b32 v8, v8 offset:1032
.LBB7_78:                               ;   in Loop: Header=BB7_11 Depth=1
	ds_write_b8 v8, v15 offset:1036
.LBB7_79:                               ;   in Loop: Header=BB7_11 Depth=1
	s_or_b32 exec_lo, exec_lo, s50
	s_waitcnt lgkmcnt(0)
	s_waitcnt_vscnt null, 0x0
	s_barrier
	buffer_gl0_inv
	ds_read_u8 v1, v8 offset:1036
	s_mov_b32 s8, -1
	s_waitcnt lgkmcnt(0)
	v_cmp_eq_u32_e32 vcc_lo, 0, v1
	s_cbranch_vccz .LBB7_83
; %bb.80:                               ;   in Loop: Header=BB7_11 Depth=1
	s_and_saveexec_b32 s8, s3
	s_cbranch_execz .LBB7_82
; %bb.81:                               ;   in Loop: Header=BB7_11 Depth=1
	global_store_dword v8, v8, s[48:49]
.LBB7_82:                               ;   in Loop: Header=BB7_11 Depth=1
	s_or_b32 exec_lo, exec_lo, s8
	s_mov_b32 s8, 0
.LBB7_83:                               ;   in Loop: Header=BB7_11 Depth=1
	s_andn2_b32 vcc_lo, exec_lo, s8
	s_cbranch_vccnz .LBB7_10
; %bb.84:                               ;   in Loop: Header=BB7_11 Depth=1
	ds_read_b32 v1, v8 offset:1028
	s_waitcnt lgkmcnt(0)
	v_readfirstlane_b32 s46, v1
	s_and_saveexec_b32 s8, s3
	s_cbranch_execz .LBB7_86
; %bb.85:                               ;   in Loop: Header=BB7_11 Depth=1
	s_cmp_eq_u32 s46, 0
	s_cselect_b32 s4, -1, 1
	v_mov_b32_e32 v1, s4
	global_store_dword v8, v1, s[48:49]
.LBB7_86:                               ;   in Loop: Header=BB7_11 Depth=1
	s_or_b32 exec_lo, exec_lo, s8
	s_add_i32 s54, s20, 1
	s_mul_i32 s48, s42, s74
	s_sub_i32 s52, 1, s46
	s_ashr_i32 s49, s48, 31
	s_sub_i32 s50, s46, s52
	s_lshl_b32 s4, s54, 1
	s_and_b32 s5, s73, exec_lo
	s_cselect_b32 s21, s4, 0
	s_and_saveexec_b32 s31, s3
	s_cbranch_execz .LBB7_152
; %bb.87:                               ;   in Loop: Header=BB7_11 Depth=1
	s_cmp_lg_u32 s46, 0
	v_mov_b32_e32 v5, 0
	s_cselect_b32 s95, -1, 0
	v_mov_b32_e32 v1, 0
	s_and_b32 s4, s95, exec_lo
	s_cselect_b32 s56, 0, s20
	s_ashr_i32 s57, s56, 31
	s_lshl_b64 s[60:61], s[56:57], 2
	s_add_u32 s60, s58, s60
	s_addc_u32 s61, s59, s61
	global_load_dword v3, v8, s[60:61]
	s_waitcnt vmcnt(0)
	v_cmp_eq_f32_e32 vcc_lo, 0, v3
	s_cbranch_vccnz .LBB7_89
; %bb.88:                               ;   in Loop: Header=BB7_11 Depth=1
	ds_read_b32 v1, v8 offset:1032
	v_cmp_lt_f32_e64 s8, 0, v3
	s_waitcnt lgkmcnt(0)
	v_div_scale_f32 v2, null, v3, v3, v1
	v_div_scale_f32 v17, vcc_lo, v1, v3, v1
	v_rcp_f32_e32 v4, v2
	v_fma_f32 v16, -v2, v4, 1.0
	v_fmac_f32_e32 v4, v16, v4
	v_mul_f32_e32 v16, v17, v4
	v_fma_f32 v18, -v2, v16, v17
	v_fmac_f32_e32 v16, v18, v4
	v_cndmask_b32_e64 v18, 0, 1, s8
	v_cmp_gt_f32_e64 s8, 0, v3
	v_fma_f32 v2, -v2, v16, v17
	v_subrev_co_ci_u32_e64 v17, null, 0, v18, s8
	v_div_fmas_f32 v2, v2, v4, v16
	v_cvt_f32_i32_e32 v4, v17
	v_div_fixup_f32 v2, v2, v3, v1
	v_sub_f32_e64 v1, |v3|, v1
	v_add_f32_e32 v2, v2, v4
	v_mul_f32_e32 v1, v1, v2
.LBB7_89:                               ;   in Loop: Header=BB7_11 Depth=1
	s_ashr_i32 s47, s46, 31
	s_sub_u32 s51, 0, s46
	s_subb_u32 s55, 0, s47
	s_add_u32 s58, s56, s46
	s_addc_u32 s59, s57, s47
	s_lshl_b64 s[62:63], s[58:59], 2
	s_add_u32 s64, s9, s62
	s_addc_u32 s65, s94, s63
	global_load_dword v4, v8, s[64:65] offset:-4
	s_waitcnt vmcnt(0)
	v_cmp_eq_f32_e32 vcc_lo, 0, v4
	s_cbranch_vccnz .LBB7_93
; %bb.90:                               ;   in Loop: Header=BB7_11 Depth=1
	v_cmp_eq_f32_e32 vcc_lo, 0, v1
	s_cbranch_vccnz .LBB7_94
; %bb.91:                               ;   in Loop: Header=BB7_11 Depth=1
	v_cmp_gt_f32_e64 s4, |v4|, |v1|
	s_and_b32 vcc_lo, exec_lo, s4
	s_cbranch_vccnz .LBB7_95
; %bb.92:                               ;   in Loop: Header=BB7_11 Depth=1
	v_div_scale_f32 v2, null, v1, v1, -v4
	v_div_scale_f32 v17, vcc_lo, -v4, v1, -v4
	v_rcp_f32_e32 v5, v2
	v_fma_f32 v16, -v2, v5, 1.0
	v_fmac_f32_e32 v5, v16, v5
	v_mul_f32_e32 v16, v17, v5
	v_fma_f32 v18, -v2, v16, v17
	v_fmac_f32_e32 v16, v18, v5
	v_fma_f32 v2, -v2, v16, v17
	v_div_fmas_f32 v2, v2, v5, v16
	v_div_fixup_f32 v2, v2, v1, -v4
	v_fma_f32 v5, v2, v2, 1.0
	v_mul_f32_e32 v16, 0x4f800000, v5
	v_cmp_gt_f32_e32 vcc_lo, 0xf800000, v5
	v_cndmask_b32_e32 v5, v5, v16, vcc_lo
	v_sqrt_f32_e32 v16, v5
	v_add_nc_u32_e32 v17, -1, v16
	v_add_nc_u32_e32 v18, 1, v16
	v_fma_f32 v19, -v17, v16, v5
	v_fma_f32 v20, -v18, v16, v5
	v_cmp_ge_f32_e64 s8, 0, v19
	v_cndmask_b32_e64 v16, v16, v17, s8
	v_cmp_lt_f32_e64 s8, 0, v20
	v_cndmask_b32_e64 v16, v16, v18, s8
	v_mul_f32_e32 v17, 0x37800000, v16
	v_cndmask_b32_e32 v16, v16, v17, vcc_lo
	v_cmp_class_f32_e64 vcc_lo, v5, 0x260
	v_cndmask_b32_e32 v5, v16, v5, vcc_lo
	v_div_scale_f32 v16, null, v5, v5, 1.0
	v_rcp_f32_e32 v17, v16
	v_fma_f32 v18, -v16, v17, 1.0
	v_fmac_f32_e32 v17, v18, v17
	v_div_scale_f32 v18, vcc_lo, 1.0, v5, 1.0
	v_mul_f32_e32 v19, v18, v17
	v_fma_f32 v20, -v16, v19, v18
	v_fmac_f32_e32 v19, v20, v17
	v_fma_f32 v16, -v16, v19, v18
	v_div_fmas_f32 v16, v16, v17, v19
	v_div_fixup_f32 v16, v16, v5, 1.0
	v_mul_f32_e32 v5, v2, v16
	s_cbranch_execz .LBB7_96
	s_branch .LBB7_97
.LBB7_93:                               ;   in Loop: Header=BB7_11 Depth=1
	v_mov_b32_e32 v16, 1.0
	s_branch .LBB7_97
.LBB7_94:                               ;   in Loop: Header=BB7_11 Depth=1
	v_mov_b32_e32 v16, 0
	v_mov_b32_e32 v5, 1.0
	s_branch .LBB7_97
.LBB7_95:                               ;   in Loop: Header=BB7_11 Depth=1
                                        ; implicit-def: $vgpr5
                                        ; implicit-def: $vgpr16
.LBB7_96:                               ;   in Loop: Header=BB7_11 Depth=1
	v_div_scale_f32 v2, null, v4, v4, -v1
	v_div_scale_f32 v17, vcc_lo, -v1, v4, -v1
	v_rcp_f32_e32 v5, v2
	v_fma_f32 v16, -v2, v5, 1.0
	v_fmac_f32_e32 v5, v16, v5
	v_mul_f32_e32 v16, v17, v5
	v_fma_f32 v18, -v2, v16, v17
	v_fmac_f32_e32 v16, v18, v5
	v_fma_f32 v2, -v2, v16, v17
	v_div_fmas_f32 v2, v2, v5, v16
	v_div_fixup_f32 v1, v2, v4, -v1
	v_fma_f32 v2, v1, v1, 1.0
	v_mul_f32_e32 v5, 0x4f800000, v2
	v_cmp_gt_f32_e32 vcc_lo, 0xf800000, v2
	v_cndmask_b32_e32 v2, v2, v5, vcc_lo
	v_sqrt_f32_e32 v5, v2
	v_add_nc_u32_e32 v16, -1, v5
	v_add_nc_u32_e32 v17, 1, v5
	v_fma_f32 v18, -v16, v5, v2
	v_fma_f32 v19, -v17, v5, v2
	v_cmp_ge_f32_e64 s8, 0, v18
	v_cndmask_b32_e64 v5, v5, v16, s8
	v_cmp_lt_f32_e64 s8, 0, v19
	v_cndmask_b32_e64 v5, v5, v17, s8
	v_mul_f32_e32 v16, 0x37800000, v5
	v_cndmask_b32_e32 v5, v5, v16, vcc_lo
	v_cmp_class_f32_e64 vcc_lo, v2, 0x260
	v_cndmask_b32_e32 v2, v5, v2, vcc_lo
	v_div_scale_f32 v5, null, v2, v2, 1.0
	v_rcp_f32_e32 v16, v5
	v_fma_f32 v17, -v5, v16, 1.0
	v_fmac_f32_e32 v16, v17, v16
	v_div_scale_f32 v17, vcc_lo, 1.0, v2, 1.0
	v_mul_f32_e32 v18, v17, v16
	v_fma_f32 v19, -v5, v18, v17
	v_fmac_f32_e32 v18, v19, v16
	v_fma_f32 v5, -v5, v18, v17
	v_div_fmas_f32 v5, v5, v16, v18
	v_div_fixup_f32 v5, v5, v2, 1.0
	v_mul_f32_e32 v16, v1, v5
.LBB7_97:                               ;   in Loop: Header=BB7_11 Depth=1
	s_lshl_b64 s[66:67], s[48:49], 2
	s_and_b32 s4, s73, s95
	v_mul_f32_e32 v1, v3, v5
	s_add_u32 s53, s40, s66
	s_addc_u32 s57, s41, s67
	s_sub_u32 s68, s46, s51
	s_subb_u32 s69, s47, s55
	v_fmac_f32_e32 v1, v4, v16
	s_lshl_b64 s[70:71], s[68:69], 2
	s_add_u32 s70, s60, s70
	s_addc_u32 s71, s61, s71
	global_store_dword v8, v1, s[64:65] offset:-4
	global_load_dword v2, v8, s[70:71] offset:-4
	v_cndmask_b32_e64 v1, 0, 1, s4
	s_andn2_b32 vcc_lo, exec_lo, s4
	s_waitcnt vmcnt(0)
	v_mul_f32_e32 v17, v16, v2
	global_store_dword v8, v17, s[70:71] offset:-4
	s_cbranch_vccnz .LBB7_99
; %bb.98:                               ;   in Loop: Header=BB7_11 Depth=1
	s_add_u32 s84, s53, s62
	s_addc_u32 s85, s57, s63
	s_ashr_i32 s55, s54, 31
	s_lshl_b64 s[96:97], s[54:55], 2
	s_add_u32 s96, s84, s96
	s_addc_u32 s97, s85, s97
	global_store_dword v8, v16, s[84:85] offset:12
	global_store_dword v8, v5, s[96:97] offset:12
.LBB7_99:                               ;   in Loop: Header=BB7_11 Depth=1
	s_cmp_lg_u32 s46, 1
	s_cselect_b32 s85, -1, 0
	s_cmp_eq_u32 s46, 1
	s_cselect_b32 s4, -1, 0
	s_or_b32 s84, s76, s4
	s_and_b32 vcc_lo, exec_lo, s84
	s_cbranch_vccnz .LBB7_101
; %bb.100:                              ;   in Loop: Header=BB7_11 Depth=1
	s_ashr_i32 s4, s21, 31
	s_add_u32 s96, s58, s21
	s_addc_u32 s97, s59, s4
	s_lshl_b64 s[96:97], s[96:97], 2
	s_add_u32 s96, s53, s96
	s_addc_u32 s97, s57, s97
	s_ashr_i32 s55, s54, 31
	s_lshl_b64 s[98:99], s[54:55], 2
	s_add_u32 s98, s96, s98
	s_addc_u32 s99, s97, s99
	global_store_dword v8, v16, s[96:97] offset:12
	global_store_dword v8, v5, s[98:99] offset:12
.LBB7_101:                              ;   in Loop: Header=BB7_11 Depth=1
	v_mul_f32_e64 v2, v2, -v5
	v_mul_f32_e32 v4, v4, v5
	v_cmp_eq_f32_e32 vcc_lo, 0, v2
	v_fma_f32 v3, v3, v16, -v4
	s_cbranch_vccnz .LBB7_105
; %bb.102:                              ;   in Loop: Header=BB7_11 Depth=1
	v_cmp_eq_f32_e32 vcc_lo, 0, v3
	s_cbranch_vccnz .LBB7_106
; %bb.103:                              ;   in Loop: Header=BB7_11 Depth=1
	v_cmp_gt_f32_e64 s4, |v2|, |v3|
	s_and_b32 vcc_lo, exec_lo, s4
	s_cbranch_vccnz .LBB7_107
; %bb.104:                              ;   in Loop: Header=BB7_11 Depth=1
	v_div_scale_f32 v4, null, v3, v3, -v2
	v_div_scale_f32 v17, vcc_lo, -v2, v3, -v2
	v_rcp_f32_e32 v5, v4
	v_fma_f32 v16, -v4, v5, 1.0
	v_fmac_f32_e32 v5, v16, v5
	v_mul_f32_e32 v16, v17, v5
	v_fma_f32 v18, -v4, v16, v17
	v_fmac_f32_e32 v16, v18, v5
	v_fma_f32 v4, -v4, v16, v17
	v_div_fmas_f32 v4, v4, v5, v16
	v_div_fixup_f32 v5, v4, v3, -v2
	v_fma_f32 v4, v5, v5, 1.0
	v_mul_f32_e32 v16, 0x4f800000, v4
	v_cmp_gt_f32_e32 vcc_lo, 0xf800000, v4
	v_cndmask_b32_e32 v4, v4, v16, vcc_lo
	v_sqrt_f32_e32 v16, v4
	v_add_nc_u32_e32 v17, -1, v16
	v_add_nc_u32_e32 v18, 1, v16
	v_fma_f32 v19, -v17, v16, v4
	v_fma_f32 v20, -v18, v16, v4
	v_cmp_ge_f32_e64 s8, 0, v19
	v_cndmask_b32_e64 v16, v16, v17, s8
	v_cmp_lt_f32_e64 s8, 0, v20
	v_cndmask_b32_e64 v16, v16, v18, s8
	v_mul_f32_e32 v17, 0x37800000, v16
	v_cndmask_b32_e32 v16, v16, v17, vcc_lo
	v_cmp_class_f32_e64 vcc_lo, v4, 0x260
	v_cndmask_b32_e32 v4, v16, v4, vcc_lo
	v_div_scale_f32 v16, null, v4, v4, 1.0
	v_rcp_f32_e32 v17, v16
	v_fma_f32 v18, -v16, v17, 1.0
	v_fmac_f32_e32 v17, v18, v17
	v_div_scale_f32 v18, vcc_lo, 1.0, v4, 1.0
	v_mul_f32_e32 v19, v18, v17
	v_fma_f32 v20, -v16, v19, v18
	v_fmac_f32_e32 v19, v20, v17
	v_fma_f32 v16, -v16, v19, v18
	v_div_fmas_f32 v16, v16, v17, v19
	v_div_fixup_f32 v4, v16, v4, 1.0
	v_mul_f32_e32 v5, v5, v4
	s_cbranch_execz .LBB7_108
	s_branch .LBB7_109
.LBB7_105:                              ;   in Loop: Header=BB7_11 Depth=1
	v_mov_b32_e32 v4, 1.0
	v_mov_b32_e32 v5, 0
	s_branch .LBB7_111
.LBB7_106:                              ;   in Loop: Header=BB7_11 Depth=1
	v_xor_b32_e32 v3, 0x80000000, v2
                                        ; implicit-def: $vgpr5
                                        ; implicit-def: $vgpr4
	s_cbranch_execnz .LBB7_110
	s_branch .LBB7_111
.LBB7_107:                              ;   in Loop: Header=BB7_11 Depth=1
                                        ; implicit-def: $vgpr5
                                        ; implicit-def: $vgpr4
.LBB7_108:                              ;   in Loop: Header=BB7_11 Depth=1
	v_div_scale_f32 v4, null, v2, v2, -v3
	v_div_scale_f32 v17, vcc_lo, -v3, v2, -v3
	v_rcp_f32_e32 v5, v4
	v_fma_f32 v16, -v4, v5, 1.0
	v_fmac_f32_e32 v5, v16, v5
	v_mul_f32_e32 v16, v17, v5
	v_fma_f32 v18, -v4, v16, v17
	v_fmac_f32_e32 v16, v18, v5
	v_fma_f32 v4, -v4, v16, v17
	v_div_fmas_f32 v4, v4, v5, v16
	v_div_fixup_f32 v4, v4, v2, -v3
	v_fma_f32 v5, v4, v4, 1.0
	v_mul_f32_e32 v16, 0x4f800000, v5
	v_cmp_gt_f32_e32 vcc_lo, 0xf800000, v5
	v_cndmask_b32_e32 v5, v5, v16, vcc_lo
	v_sqrt_f32_e32 v16, v5
	v_add_nc_u32_e32 v17, -1, v16
	v_add_nc_u32_e32 v18, 1, v16
	v_fma_f32 v19, -v17, v16, v5
	v_fma_f32 v20, -v18, v16, v5
	v_cmp_ge_f32_e64 s8, 0, v19
	v_cndmask_b32_e64 v16, v16, v17, s8
	v_cmp_lt_f32_e64 s8, 0, v20
	v_cndmask_b32_e64 v16, v16, v18, s8
	v_mul_f32_e32 v17, 0x37800000, v16
	v_cndmask_b32_e32 v16, v16, v17, vcc_lo
	v_cmp_class_f32_e64 vcc_lo, v5, 0x260
	v_cndmask_b32_e32 v5, v16, v5, vcc_lo
	v_div_scale_f32 v16, null, v5, v5, 1.0
	v_rcp_f32_e32 v17, v16
	v_fma_f32 v18, -v16, v17, 1.0
	v_fmac_f32_e32 v17, v18, v17
	v_div_scale_f32 v18, vcc_lo, 1.0, v5, 1.0
	v_mul_f32_e32 v19, v18, v17
	v_fma_f32 v20, -v16, v19, v18
	v_fmac_f32_e32 v19, v20, v17
	v_fma_f32 v16, -v16, v19, v18
	v_div_fmas_f32 v16, v16, v17, v19
	v_div_fixup_f32 v5, v16, v5, 1.0
	v_mul_f32_e32 v4, v4, v5
.LBB7_109:                              ;   in Loop: Header=BB7_11 Depth=1
	v_mul_f32_e32 v16, v2, v5
	v_fma_f32 v3, v3, v4, -v16
	s_branch .LBB7_111
.LBB7_110:                              ;   in Loop: Header=BB7_11 Depth=1
	v_mov_b32_e32 v4, 0
	v_mov_b32_e32 v5, 1.0
.LBB7_111:                              ;   in Loop: Header=BB7_11 Depth=1
	global_store_dword v8, v3, s[60:61]
	s_clause 0x1
	global_load_dword v17, v8, s[70:71] offset:-4
	global_load_dword v16, v8, s[64:65] offset:-4
	s_cmp_eq_u32 s54, 2
	s_waitcnt vmcnt(1)
	v_mul_f32_e32 v3, v4, v17
	s_waitcnt vmcnt(0)
	v_fmac_f32_e32 v3, v5, v16
	global_store_dword v8, v3, s[70:71] offset:-4
	s_cbranch_scc0 .LBB7_148
; %bb.112:                              ;   in Loop: Header=BB7_11 Depth=1
	s_and_b32 s4, s73, s85
	v_cndmask_b32_e64 v3, 0, 1, s4
	s_andn2_b32 vcc_lo, exec_lo, s4
	s_cbranch_vccz .LBB7_149
.LBB7_113:                              ;   in Loop: Header=BB7_11 Depth=1
	s_xor_b32 s4, s95, -1
	s_or_b32 s8, s76, s4
	s_and_b32 vcc_lo, exec_lo, s8
	s_cbranch_vccnz .LBB7_115
.LBB7_114:                              ;   in Loop: Header=BB7_11 Depth=1
	s_ashr_i32 s4, s21, 31
	s_add_u32 s58, s58, s21
	s_addc_u32 s59, s59, s4
	s_lshl_b64 s[58:59], s[58:59], 2
	s_add_u32 s58, s53, s58
	s_addc_u32 s59, s57, s59
	s_ashr_i32 s55, s54, 31
	s_lshl_b64 s[60:61], s[54:55], 2
	s_add_u32 s60, s58, s60
	s_addc_u32 s61, s59, s61
	global_store_dword v8, v4, s[58:59] offset:12
	global_store_dword v8, v5, s[60:61] offset:12
.LBB7_115:                              ;   in Loop: Header=BB7_11 Depth=1
	v_mul_f32_e32 v5, v5, v17
	s_cmp_eq_u32 s20, 1
	s_mov_b32 s51, 0
	v_fma_f32 v4, v4, v16, -v5
	s_cbranch_scc1 .LBB7_151
; %bb.116:                              ;   in Loop: Header=BB7_11 Depth=1
	s_xor_b32 s62, s84, -1
	s_xor_b32 s63, s8, -1
	s_add_i32 s58, s56, s50
	s_add_i32 s51, s20, -1
	s_sub_i32 s56, s56, s52
	s_ashr_i32 s4, s21, 31
	s_ashr_i32 s55, s54, 31
	s_add_u32 s5, s68, s21
	s_addc_u32 s4, s69, s4
	s_ashr_i32 s57, s56, 31
	s_add_u32 s60, s5, s56
	s_addc_u32 s61, s4, s57
	s_mov_b32 s79, s78
	s_lshl_b64 s[60:61], s[60:61], 2
	s_mov_b32 s78, s77
	s_add_u32 s4, s60, s66
	s_addc_u32 s5, s61, s67
	s_lshl_b64 s[60:61], s[54:55], 2
	s_mov_b32 s77, s76
	s_add_u32 s8, s4, s60
	s_addc_u32 s53, s5, s61
	s_add_u32 s64, s82, s8
	s_addc_u32 s65, s83, s53
	s_lshl_b32 s8, s46, 1
	s_mov_b32 s76, s74
	s_add_i32 s54, s8, -2
	s_mov_b32 s74, s91
	s_ashr_i32 s55, s54, 31
	s_mov_b32 s91, s88
	s_lshl_b64 s[54:55], s[54:55], 2
	s_mov_b32 s90, s6
	s_or_b32 s54, s54, 4
	s_add_u32 s68, s82, s4
	s_addc_u32 s69, s83, s5
	s_lshl_b64 s[84:85], s[46:47], 3
	s_mov_b32 s6, s87
	s_add_u32 s4, s84, s66
	s_addc_u32 s5, s85, s67
	s_lshl_b64 s[98:99], s[56:57], 2
	s_mov_b32 s87, s86
	s_add_u32 s4, s4, s98
	s_addc_u32 s5, s5, s99
	s_add_u32 s8, s4, s60
	s_addc_u32 s53, s5, s61
	;; [unrolled: 2-line block ×6, first 2 shown]
	s_mul_i32 s4, s46, 12
	s_lshl_b64 s[56:57], s[56:57], 2
	s_mul_hi_i32 s5, s46, 12
	s_add_u32 s4, s4, s56
	s_addc_u32 s5, s5, s57
	s_ashr_i32 s53, s52, 31
	v_readlane_b32 s8, v27, 0
	s_lshl_b64 s[52:53], s[52:53], 2
	s_mov_b32 s104, 1
	s_sub_u32 s4, s4, s52
	s_subb_u32 s5, s5, s53
	s_add_u32 s43, s8, s4
	v_readlane_b32 s4, v27, 1
	v_readlane_b32 s53, v27, 2
	s_addc_u32 s71, s4, s5
	s_add_u32 s4, s84, s44
	s_addc_u32 s5, s85, s45
	s_add_u32 s8, s4, s98
	;; [unrolled: 2-line block ×3, first 2 shown]
	v_readlane_b32 s8, v27, 3
	s_addc_u32 s97, s8, s52
	s_add_u32 s8, s44, s98
	s_addc_u32 s52, s45, s99
	s_add_u32 s98, s36, s8
	s_addc_u32 s99, s72, s52
	s_ashr_i32 s59, s58, 31
	v_readlane_b32 s8, v27, 4
	s_lshl_b64 s[52:53], s[58:59], 2
	s_add_u32 s4, s4, s52
	s_addc_u32 s5, s5, s53
	s_add_u32 vcc_hi, s8, s4
	v_readlane_b32 s4, v27, 5
	s_addc_u32 s84, s4, s5
	s_add_u32 s4, s44, s52
	s_addc_u32 s5, s45, s53
	s_add_u32 s85, s24, s4
	s_addc_u32 s86, s33, s5
	s_mov_b64 s[52:53], 0
	s_branch .LBB7_118
.LBB7_117:                              ;   in Loop: Header=BB7_118 Depth=2
	v_mul_f32_e32 v16, v16, v17
	s_add_i32 s104, s104, 1
	s_add_u32 s52, s52, s54
	s_addc_u32 s53, s53, s55
	s_cmp_eq_u32 s20, s104
	v_fma_f32 v4, v5, v4, -v16
	s_cbranch_scc1 .LBB7_150
.LBB7_118:                              ;   Parent Loop BB7_11 Depth=1
                                        ; =>  This Inner Loop Header: Depth=2
	v_cmp_eq_f32_e32 vcc_lo, 0, v2
	s_cbranch_vccnz .LBB7_122
; %bb.119:                              ;   in Loop: Header=BB7_118 Depth=2
	v_cmp_neq_f32_e32 vcc_lo, 0, v4
	s_cbranch_vccz .LBB7_123
; %bb.120:                              ;   in Loop: Header=BB7_118 Depth=2
	v_cmp_ngt_f32_e64 s4, |v2|, |v4|
	s_and_b32 vcc_lo, exec_lo, s4
	s_cbranch_vccz .LBB7_124
; %bb.121:                              ;   in Loop: Header=BB7_118 Depth=2
	v_div_scale_f32 v5, null, v4, v4, -v2
	v_div_scale_f32 v18, vcc_lo, -v2, v4, -v2
	v_rcp_f32_e32 v16, v5
	v_fma_f32 v17, -v5, v16, 1.0
	v_fmac_f32_e32 v16, v17, v16
	v_mul_f32_e32 v17, v18, v16
	v_fma_f32 v19, -v5, v17, v18
	v_fmac_f32_e32 v17, v19, v16
	v_fma_f32 v5, -v5, v17, v18
	v_div_fmas_f32 v5, v5, v16, v17
	v_div_fixup_f32 v16, v5, v4, -v2
	v_fma_f32 v5, v16, v16, 1.0
	v_mul_f32_e32 v17, 0x4f800000, v5
	v_cmp_gt_f32_e32 vcc_lo, 0xf800000, v5
	v_cndmask_b32_e32 v5, v5, v17, vcc_lo
	v_sqrt_f32_e32 v17, v5
	v_add_nc_u32_e32 v18, -1, v17
	v_add_nc_u32_e32 v19, 1, v17
	v_fma_f32 v20, -v18, v17, v5
	v_fma_f32 v21, -v19, v17, v5
	v_cmp_ge_f32_e64 s8, 0, v20
	v_cndmask_b32_e64 v17, v17, v18, s8
	v_cmp_lt_f32_e64 s8, 0, v21
	v_cndmask_b32_e64 v17, v17, v19, s8
	v_mul_f32_e32 v18, 0x37800000, v17
	v_cndmask_b32_e32 v17, v17, v18, vcc_lo
	v_cmp_class_f32_e64 vcc_lo, v5, 0x260
	v_cndmask_b32_e32 v5, v17, v5, vcc_lo
	v_div_scale_f32 v17, null, v5, v5, 1.0
	v_rcp_f32_e32 v18, v17
	v_fma_f32 v19, -v17, v18, 1.0
	v_fmac_f32_e32 v18, v19, v18
	v_div_scale_f32 v19, vcc_lo, 1.0, v5, 1.0
	v_mul_f32_e32 v20, v19, v18
	v_fma_f32 v21, -v17, v20, v19
	v_fmac_f32_e32 v20, v21, v18
	v_fma_f32 v17, -v17, v20, v19
	v_div_fmas_f32 v17, v17, v18, v20
	v_div_fixup_f32 v5, v17, v5, 1.0
	v_mul_f32_e32 v16, v16, v5
	s_cbranch_execz .LBB7_125
	s_branch .LBB7_126
.LBB7_122:                              ;   in Loop: Header=BB7_118 Depth=2
	v_mov_b32_e32 v5, 1.0
	v_mov_b32_e32 v16, 0
	s_branch .LBB7_128
.LBB7_123:                              ;   in Loop: Header=BB7_118 Depth=2
	v_xor_b32_e32 v4, 0x80000000, v2
                                        ; implicit-def: $vgpr16
                                        ; implicit-def: $vgpr5
	s_cbranch_execnz .LBB7_127
	s_branch .LBB7_128
.LBB7_124:                              ;   in Loop: Header=BB7_118 Depth=2
                                        ; implicit-def: $vgpr16
                                        ; implicit-def: $vgpr5
.LBB7_125:                              ;   in Loop: Header=BB7_118 Depth=2
	v_div_scale_f32 v5, null, v2, v2, -v4
	v_div_scale_f32 v18, vcc_lo, -v4, v2, -v4
	v_rcp_f32_e32 v16, v5
	v_fma_f32 v17, -v5, v16, 1.0
	v_fmac_f32_e32 v16, v17, v16
	v_mul_f32_e32 v17, v18, v16
	v_fma_f32 v19, -v5, v17, v18
	v_fmac_f32_e32 v17, v19, v16
	v_fma_f32 v5, -v5, v17, v18
	v_div_fmas_f32 v5, v5, v16, v17
	v_div_fixup_f32 v5, v5, v2, -v4
	v_fma_f32 v16, v5, v5, 1.0
	v_mul_f32_e32 v17, 0x4f800000, v16
	v_cmp_gt_f32_e32 vcc_lo, 0xf800000, v16
	v_cndmask_b32_e32 v16, v16, v17, vcc_lo
	v_sqrt_f32_e32 v17, v16
	v_add_nc_u32_e32 v18, -1, v17
	v_add_nc_u32_e32 v19, 1, v17
	v_fma_f32 v20, -v18, v17, v16
	v_fma_f32 v21, -v19, v17, v16
	v_cmp_ge_f32_e64 s8, 0, v20
	v_cndmask_b32_e64 v17, v17, v18, s8
	v_cmp_lt_f32_e64 s8, 0, v21
	v_cndmask_b32_e64 v17, v17, v19, s8
	v_mul_f32_e32 v18, 0x37800000, v17
	v_cndmask_b32_e32 v17, v17, v18, vcc_lo
	v_cmp_class_f32_e64 vcc_lo, v16, 0x260
	v_cndmask_b32_e32 v16, v17, v16, vcc_lo
	v_div_scale_f32 v17, null, v16, v16, 1.0
	v_rcp_f32_e32 v18, v17
	v_fma_f32 v19, -v17, v18, 1.0
	v_fmac_f32_e32 v18, v19, v18
	v_div_scale_f32 v19, vcc_lo, 1.0, v16, 1.0
	v_mul_f32_e32 v20, v19, v18
	v_fma_f32 v21, -v17, v20, v19
	v_fmac_f32_e32 v20, v21, v18
	v_fma_f32 v17, -v17, v20, v19
	v_div_fmas_f32 v17, v17, v18, v20
	v_div_fixup_f32 v16, v17, v16, 1.0
	v_mul_f32_e32 v5, v5, v16
.LBB7_126:                              ;   in Loop: Header=BB7_118 Depth=2
	v_mul_f32_e32 v2, v2, v16
	v_fma_f32 v4, v4, v5, -v2
	s_branch .LBB7_128
.LBB7_127:                              ;   in Loop: Header=BB7_118 Depth=2
	v_mov_b32_e32 v5, 0
	v_mov_b32_e32 v16, 1.0
.LBB7_128:                              ;   in Loop: Header=BB7_118 Depth=2
	s_add_u32 s60, s98, s52
	s_addc_u32 s61, s99, s53
	s_add_u32 s56, s85, s52
	s_addc_u32 s57, s86, s53
	;; [unrolled: 2-line block ×3, first 2 shown]
	global_store_dword v8, v4, s[60:61]
	s_clause 0x1
	global_load_dword v17, v8, s[58:59]
	global_load_dword v4, v8, s[56:57]
	s_add_u32 s60, vcc_hi, s52
	s_addc_u32 s61, s84, s53
	v_cmp_ne_u32_e32 vcc_lo, 1, v1
	s_and_b32 vcc_lo, exec_lo, vcc_lo
	s_waitcnt vmcnt(1)
	v_mul_f32_e32 v2, v5, v17
	s_waitcnt vmcnt(0)
	v_fmac_f32_e32 v2, v16, v4
	global_store_dword v8, v2, s[58:59]
	global_load_dword v2, v8, s[60:61]
	s_waitcnt vmcnt(0)
	v_mul_f32_e32 v18, v5, v2
	global_store_dword v8, v18, s[60:61]
	s_cbranch_vccnz .LBB7_130
; %bb.129:                              ;   in Loop: Header=BB7_118 Depth=2
	s_add_u32 s88, s67, s52
	s_addc_u32 s89, s70, s53
	s_add_u32 s4, s47, s52
	s_addc_u32 s5, s66, s53
	global_store_dword v8, v5, s[88:89]
	global_store_dword v8, v16, s[4:5]
.LBB7_130:                              ;   in Loop: Header=BB7_118 Depth=2
	s_andn2_b32 vcc_lo, exec_lo, s62
	s_cbranch_vccnz .LBB7_132
; %bb.131:                              ;   in Loop: Header=BB7_118 Depth=2
	s_add_u32 s4, s68, s52
	s_addc_u32 s5, s69, s53
	s_add_u32 s88, s64, s52
	s_addc_u32 s89, s65, s53
	global_store_dword v8, v5, s[4:5]
	global_store_dword v8, v16, s[88:89]
.LBB7_132:                              ;   in Loop: Header=BB7_118 Depth=2
	v_mul_f32_e64 v2, v2, -v16
	v_mul_f32_e32 v16, v16, v17
	v_cmp_eq_f32_e32 vcc_lo, 0, v2
	v_fma_f32 v4, v5, v4, -v16
	s_cbranch_vccnz .LBB7_136
; %bb.133:                              ;   in Loop: Header=BB7_118 Depth=2
	v_cmp_neq_f32_e32 vcc_lo, 0, v4
	s_cbranch_vccz .LBB7_137
; %bb.134:                              ;   in Loop: Header=BB7_118 Depth=2
	v_cmp_ngt_f32_e64 s4, |v2|, |v4|
	s_and_b32 vcc_lo, exec_lo, s4
	s_cbranch_vccz .LBB7_138
; %bb.135:                              ;   in Loop: Header=BB7_118 Depth=2
	v_div_scale_f32 v5, null, v4, v4, -v2
	v_div_scale_f32 v18, vcc_lo, -v2, v4, -v2
	v_rcp_f32_e32 v16, v5
	v_fma_f32 v17, -v5, v16, 1.0
	v_fmac_f32_e32 v16, v17, v16
	v_mul_f32_e32 v17, v18, v16
	v_fma_f32 v19, -v5, v17, v18
	v_fmac_f32_e32 v17, v19, v16
	v_fma_f32 v5, -v5, v17, v18
	v_div_fmas_f32 v5, v5, v16, v17
	v_div_fixup_f32 v16, v5, v4, -v2
	v_fma_f32 v5, v16, v16, 1.0
	v_mul_f32_e32 v17, 0x4f800000, v5
	v_cmp_gt_f32_e32 vcc_lo, 0xf800000, v5
	v_cndmask_b32_e32 v5, v5, v17, vcc_lo
	v_sqrt_f32_e32 v17, v5
	v_add_nc_u32_e32 v18, -1, v17
	v_add_nc_u32_e32 v19, 1, v17
	v_fma_f32 v20, -v18, v17, v5
	v_fma_f32 v21, -v19, v17, v5
	v_cmp_ge_f32_e64 s8, 0, v20
	v_cndmask_b32_e64 v17, v17, v18, s8
	v_cmp_lt_f32_e64 s8, 0, v21
	v_cndmask_b32_e64 v17, v17, v19, s8
	v_mul_f32_e32 v18, 0x37800000, v17
	v_cndmask_b32_e32 v17, v17, v18, vcc_lo
	v_cmp_class_f32_e64 vcc_lo, v5, 0x260
	v_cndmask_b32_e32 v5, v17, v5, vcc_lo
	v_div_scale_f32 v17, null, v5, v5, 1.0
	v_rcp_f32_e32 v18, v17
	v_fma_f32 v19, -v17, v18, 1.0
	v_fmac_f32_e32 v18, v19, v18
	v_div_scale_f32 v19, vcc_lo, 1.0, v5, 1.0
	v_mul_f32_e32 v20, v19, v18
	v_fma_f32 v21, -v17, v20, v19
	v_fmac_f32_e32 v20, v21, v18
	v_fma_f32 v17, -v17, v20, v19
	v_div_fmas_f32 v17, v17, v18, v20
	v_div_fixup_f32 v5, v17, v5, 1.0
	v_mul_f32_e32 v16, v16, v5
	s_cbranch_execz .LBB7_139
	s_branch .LBB7_140
.LBB7_136:                              ;   in Loop: Header=BB7_118 Depth=2
	v_mov_b32_e32 v5, 1.0
	v_mov_b32_e32 v16, 0
	s_branch .LBB7_142
.LBB7_137:                              ;   in Loop: Header=BB7_118 Depth=2
	v_xor_b32_e32 v4, 0x80000000, v2
                                        ; implicit-def: $vgpr16
                                        ; implicit-def: $vgpr5
	s_cbranch_execnz .LBB7_141
	s_branch .LBB7_142
.LBB7_138:                              ;   in Loop: Header=BB7_118 Depth=2
                                        ; implicit-def: $vgpr16
                                        ; implicit-def: $vgpr5
.LBB7_139:                              ;   in Loop: Header=BB7_118 Depth=2
	v_div_scale_f32 v5, null, v2, v2, -v4
	v_div_scale_f32 v18, vcc_lo, -v4, v2, -v4
	v_rcp_f32_e32 v16, v5
	v_fma_f32 v17, -v5, v16, 1.0
	v_fmac_f32_e32 v16, v17, v16
	v_mul_f32_e32 v17, v18, v16
	v_fma_f32 v19, -v5, v17, v18
	v_fmac_f32_e32 v17, v19, v16
	v_fma_f32 v5, -v5, v17, v18
	v_div_fmas_f32 v5, v5, v16, v17
	v_div_fixup_f32 v5, v5, v2, -v4
	v_fma_f32 v16, v5, v5, 1.0
	v_mul_f32_e32 v17, 0x4f800000, v16
	v_cmp_gt_f32_e32 vcc_lo, 0xf800000, v16
	v_cndmask_b32_e32 v16, v16, v17, vcc_lo
	v_sqrt_f32_e32 v17, v16
	v_add_nc_u32_e32 v18, -1, v17
	v_add_nc_u32_e32 v19, 1, v17
	v_fma_f32 v20, -v18, v17, v16
	v_fma_f32 v21, -v19, v17, v16
	v_cmp_ge_f32_e64 s8, 0, v20
	v_cndmask_b32_e64 v17, v17, v18, s8
	v_cmp_lt_f32_e64 s8, 0, v21
	v_cndmask_b32_e64 v17, v17, v19, s8
	v_mul_f32_e32 v18, 0x37800000, v17
	v_cndmask_b32_e32 v17, v17, v18, vcc_lo
	v_cmp_class_f32_e64 vcc_lo, v16, 0x260
	v_cndmask_b32_e32 v16, v17, v16, vcc_lo
	v_div_scale_f32 v17, null, v16, v16, 1.0
	v_rcp_f32_e32 v18, v17
	v_fma_f32 v19, -v17, v18, 1.0
	v_fmac_f32_e32 v18, v19, v18
	v_div_scale_f32 v19, vcc_lo, 1.0, v16, 1.0
	v_mul_f32_e32 v20, v19, v18
	v_fma_f32 v21, -v17, v20, v19
	v_fmac_f32_e32 v20, v21, v18
	v_fma_f32 v17, -v17, v20, v19
	v_div_fmas_f32 v17, v17, v18, v20
	v_div_fixup_f32 v16, v17, v16, 1.0
	v_mul_f32_e32 v5, v5, v16
.LBB7_140:                              ;   in Loop: Header=BB7_118 Depth=2
	v_mul_f32_e32 v17, v2, v16
	v_fma_f32 v4, v4, v5, -v17
	s_branch .LBB7_142
.LBB7_141:                              ;   in Loop: Header=BB7_118 Depth=2
	v_mov_b32_e32 v5, 0
	v_mov_b32_e32 v16, 1.0
.LBB7_142:                              ;   in Loop: Header=BB7_118 Depth=2
	global_store_dword v8, v4, s[56:57]
	s_clause 0x1
	global_load_dword v17, v8, s[60:61]
	global_load_dword v4, v8, s[58:59]
	s_cmp_ge_i32 s104, s51
	s_waitcnt vmcnt(1)
	v_mul_f32_e32 v18, v5, v17
	s_waitcnt vmcnt(0)
	v_fmac_f32_e32 v18, v16, v4
	global_store_dword v8, v18, s[60:61]
	s_cbranch_scc0 .LBB7_145
; %bb.143:                              ;   in Loop: Header=BB7_118 Depth=2
	v_cmp_ne_u32_e32 vcc_lo, 1, v3
	s_cbranch_vccz .LBB7_146
.LBB7_144:                              ;   in Loop: Header=BB7_118 Depth=2
	s_andn2_b32 vcc_lo, exec_lo, s63
	s_cbranch_vccnz .LBB7_117
	s_branch .LBB7_147
.LBB7_145:                              ;   in Loop: Header=BB7_118 Depth=2
	s_add_u32 s4, s43, s52
	s_addc_u32 s5, s71, s53
	global_load_dword v2, v8, s[4:5]
	s_waitcnt vmcnt(0)
	v_mul_f32_e32 v18, v5, v2
	v_mul_f32_e64 v2, v2, -v16
	global_store_dword v8, v18, s[4:5]
	v_cmp_ne_u32_e32 vcc_lo, 1, v3
	s_cbranch_vccnz .LBB7_144
.LBB7_146:                              ;   in Loop: Header=BB7_118 Depth=2
	s_add_u32 s4, s67, s52
	s_addc_u32 s5, s70, s53
	s_add_u32 s56, s47, s52
	s_addc_u32 s57, s66, s53
	global_store_dword v8, v5, s[4:5]
	global_store_dword v8, v16, s[56:57]
	s_andn2_b32 vcc_lo, exec_lo, s63
	s_cbranch_vccnz .LBB7_117
.LBB7_147:                              ;   in Loop: Header=BB7_118 Depth=2
	s_add_u32 s4, s68, s52
	s_addc_u32 s5, s69, s53
	s_add_u32 s56, s64, s52
	s_addc_u32 s57, s65, s53
	global_store_dword v8, v5, s[4:5]
	global_store_dword v8, v16, s[56:57]
	s_branch .LBB7_117
.LBB7_148:                              ;   in Loop: Header=BB7_11 Depth=1
	s_ashr_i32 s51, s50, 31
	s_lshl_b64 s[60:61], s[50:51], 2
	s_add_u32 s60, s64, s60
	s_addc_u32 s61, s65, s61
	global_load_dword v2, v8, s[60:61] offset:-4
	s_waitcnt vmcnt(0)
	v_mul_f32_e32 v3, v4, v2
	v_mul_f32_e64 v2, v2, -v5
	global_store_dword v8, v3, s[60:61] offset:-4
	s_and_b32 s4, s73, s85
	v_cndmask_b32_e64 v3, 0, 1, s4
	s_andn2_b32 vcc_lo, exec_lo, s4
	s_cbranch_vccnz .LBB7_113
.LBB7_149:                              ;   in Loop: Header=BB7_11 Depth=1
	s_add_u32 s60, s53, s62
	s_addc_u32 s61, s57, s63
	s_ashr_i32 s55, s54, 31
	s_lshl_b64 s[62:63], s[54:55], 2
	s_add_u32 s62, s60, s62
	s_addc_u32 s63, s61, s63
	global_store_dword v8, v4, s[60:61] offset:12
	global_store_dword v8, v5, s[62:63] offset:12
	s_xor_b32 s4, s95, -1
	s_or_b32 s8, s76, s4
	s_and_b32 vcc_lo, exec_lo, s8
	s_cbranch_vccz .LBB7_114
	s_branch .LBB7_115
.LBB7_150:                              ;   in Loop: Header=BB7_11 Depth=1
	s_mov_b32 s86, s87
	s_mov_b32 s87, s6
	;; [unrolled: 1-line block ×9, first 2 shown]
.LBB7_151:                              ;   in Loop: Header=BB7_11 Depth=1
	s_and_b32 s4, s95, exec_lo
	s_cselect_b32 s52, s51, 0
	s_ashr_i32 s53, s52, 31
	s_lshl_b64 s[52:53], s[52:53], 2
	s_add_u32 s8, s9, s52
	s_addc_u32 s9, s94, s53
	global_store_dword v8, v4, s[8:9]
.LBB7_152:                              ;   in Loop: Header=BB7_11 Depth=1
	s_or_b32 exec_lo, exec_lo, s31
	s_andn2_b32 vcc_lo, exec_lo, s77
	s_waitcnt_vscnt null, 0x0
	s_barrier
	buffer_gl0_inv
	s_cbranch_vccz .LBB7_155
; %bb.153:                              ;   in Loop: Header=BB7_11 Depth=1
	s_andn2_b32 vcc_lo, exec_lo, s78
	s_cbranch_vccz .LBB7_161
.LBB7_154:                              ;   in Loop: Header=BB7_11 Depth=1
	s_andn2_b32 vcc_lo, exec_lo, s80
	s_cbranch_vccnz .LBB7_10
	s_branch .LBB7_167
.LBB7_155:                              ;   in Loop: Header=BB7_11 Depth=1
	s_and_saveexec_b32 s9, s87
	s_cbranch_execz .LBB7_160
; %bb.156:                              ;   in Loop: Header=BB7_11 Depth=1
	s_load_dword s56, s[28:29], 0xc
	s_add_u32 s43, s34, s44
	s_addc_u32 s51, s35, s45
	s_add_i32 s4, s20, -1
	s_cmp_eq_u32 s46, 0
	v_mov_b32_e32 v16, v9
	s_cselect_b32 s4, s4, 0
	s_cselect_b32 s8, s20, 0
	s_ashr_i32 s5, s4, 31
	s_ashr_i32 s31, s30, 31
	s_lshl_b64 s[52:53], s[48:49], 2
	s_lshl_b64 s[4:5], s[4:5], 2
	s_ashr_i32 s47, s46, 31
	s_lshl_b64 s[54:55], s[30:31], 2
	v_mov_b32_e32 v17, v0
	v_add_nc_u32_e32 v1, s8, v9
	s_mov_b32 s58, 0
	s_waitcnt lgkmcnt(0)
	s_and_b32 s31, s56, 0xffff
	s_add_u32 s4, s4, s52
	s_addc_u32 s5, s5, s53
	s_add_u32 s52, s4, s54
	s_addc_u32 s53, s5, s55
	s_sub_u32 s52, s52, s44
	s_subb_u32 s53, s53, s45
	s_add_u32 s59, s88, s52
	s_addc_u32 s60, s92, s53
	s_lshl_b32 s52, s46, 1
	s_mul_i32 s61, s15, s31
	s_add_i32 s52, s52, -2
	s_ashr_i32 s53, s52, 31
	s_lshl_b64 s[54:55], s[52:53], 2
	s_or_b32 s54, s54, 4
	s_add_u32 s62, s93, s4
	s_addc_u32 s63, s91, s5
	s_lshl_b64 s[4:5], s[46:47], 1
	s_ashr_i32 s56, s8, 31
	s_add_u32 s47, s4, s8
	s_addc_u32 s64, s5, s56
	s_or_b32 s52, s52, 1
.LBB7_157:                              ;   Parent Loop BB7_11 Depth=1
                                        ; =>  This Loop Header: Depth=2
                                        ;       Child Loop BB7_158 Depth 3
	v_mad_u64_u32 v[2:3], null, v17, s15, s[8:9]
	s_mov_b64 s[56:57], 0
	s_mov_b32 s65, s20
	v_ashrrev_i32_e32 v3, 31, v2
	v_lshlrev_b64 v[2:3], 2, v[2:3]
	v_add_co_u32 v2, vcc_lo, s43, v2
	v_add_co_ci_u32_e64 v3, null, s51, v3, vcc_lo
	global_load_dword v18, v[2:3], off
	v_ashrrev_i32_e32 v2, 31, v1
	v_ashrrev_i32_e32 v3, 31, v16
	v_lshlrev_b64 v[4:5], 2, v[1:2]
	v_add_co_u32 v2, vcc_lo, s47, v16
	v_add_co_ci_u32_e64 v3, null, s64, v3, vcc_lo
	v_add_co_u32 v19, vcc_lo, s43, v4
	v_add_co_ci_u32_e64 v20, null, s51, v5, vcc_lo
	s_inst_prefetch 0x1
	.p2align	6
.LBB7_158:                              ;   Parent Loop BB7_11 Depth=1
                                        ;     Parent Loop BB7_157 Depth=2
                                        ; =>    This Inner Loop Header: Depth=3
	v_lshlrev_b64 v[4:5], 2, v[2:3]
	s_add_u32 s4, s62, s56
	s_addc_u32 s5, s63, s57
	s_add_u32 s66, s59, s56
	s_addc_u32 s67, s60, s57
	s_add_i32 s65, s65, -1
	v_add_co_u32 v4, vcc_lo, s43, v4
	v_add_co_ci_u32_e64 v5, null, s51, v5, vcc_lo
	v_add_co_u32 v21, vcc_lo, v19, s56
	s_clause 0x1
	global_load_dword v23, v8, s[4:5]
	global_load_dword v24, v8, s[66:67]
	global_load_dword v25, v[4:5], off offset:-4
	v_add_co_ci_u32_e64 v22, null, s57, v20, vcc_lo
	v_add_co_u32 v2, vcc_lo, v2, s52
	v_add_co_ci_u32_e64 v3, null, s53, v3, vcc_lo
	s_add_u32 s56, s56, s54
	s_addc_u32 s57, s57, s55
	s_cmp_eq_u32 s65, 0
	s_waitcnt vmcnt(0)
	v_mul_f32_e32 v26, v25, v24
	v_fma_f32 v26, v18, v23, -v26
	v_mul_f32_e32 v18, v18, v24
	global_store_dword v[21:22], v26, off
	v_fmac_f32_e32 v18, v25, v23
	s_cbranch_scc0 .LBB7_158
; %bb.159:                              ;   in Loop: Header=BB7_157 Depth=2
	s_inst_prefetch 0x2
	v_add_nc_u32_e32 v17, s31, v17
	v_add_nc_u32_e32 v16, s61, v16
	;; [unrolled: 1-line block ×3, first 2 shown]
	global_store_dword v[4:5], v18, off offset:-4
	v_cmp_le_i32_e32 vcc_lo, s25, v17
	s_or_b32 s58, vcc_lo, s58
	s_andn2_b32 exec_lo, exec_lo, s58
	s_cbranch_execnz .LBB7_157
.LBB7_160:                              ;   in Loop: Header=BB7_11 Depth=1
	s_or_b32 exec_lo, exec_lo, s9
	s_andn2_b32 vcc_lo, exec_lo, s78
	s_cbranch_vccnz .LBB7_154
.LBB7_161:                              ;   in Loop: Header=BB7_11 Depth=1
	s_and_saveexec_b32 s47, s86
	s_cbranch_execz .LBB7_166
; %bb.162:                              ;   in Loop: Header=BB7_11 Depth=1
	s_load_dword s43, s[28:29], 0xc
	s_mul_i32 s4, s42, s13
	v_mov_b32_e32 v5, v0
	s_ashr_i32 s5, s4, 31
	s_mov_b32 s57, 0
	s_lshl_b64 s[4:5], s[4:5], 2
	s_mul_i32 s58, s13, s50
	s_add_u32 s52, s10, s4
	s_addc_u32 s53, s11, s5
	s_add_i32 s4, s20, -1
	s_cmp_eq_u32 s46, 0
	s_cselect_b32 s42, s20, 0
	s_cselect_b32 s4, s4, 0
	s_ashr_i32 s31, s30, 31
	s_add_i32 s4, s4, s21
	s_lshl_b64 s[8:9], s[30:31], 2
	s_mul_i32 s56, s42, s13
	v_add_nc_u32_e32 v4, s56, v0
	s_waitcnt lgkmcnt(0)
	s_and_b32 s31, s43, 0xffff
	s_sub_u32 s5, s8, s44
	s_subb_u32 s8, s9, s45
	s_add_u32 s54, s5, 20
	s_addc_u32 s55, s8, 0
	s_ashr_i32 s5, s4, 31
	s_lshl_b64 s[8:9], s[48:49], 2
	s_lshl_b64 s[4:5], s[4:5], 2
	s_add_u32 s4, s8, s4
	v_readlane_b32 s8, v27, 6
	s_addc_u32 s5, s9, s5
	s_add_u32 s8, s8, s4
	s_addc_u32 s9, s81, s5
	s_lshl_b32 s5, s46, 1
	s_add_i32 s42, s42, s5
	s_add_i32 s4, s5, -2
	s_add_i32 s42, s42, -1
	s_ashr_i32 s5, s4, 31
	v_mad_u64_u32 v[1:2], null, s13, s42, v[0:1]
	s_lshl_b64 s[42:43], s[4:5], 2
	s_or_b32 s42, s42, 4
.LBB7_163:                              ;   Parent Loop BB7_11 Depth=1
                                        ; =>  This Loop Header: Depth=2
                                        ;       Child Loop BB7_164 Depth 3
	v_add_nc_u32_e32 v2, s56, v5
	s_mov_b32 s59, 0
	s_mov_b64 s[50:51], s[8:9]
	s_mov_b32 s60, s20
	v_ashrrev_i32_e32 v3, 31, v2
	v_lshlrev_b64 v[2:3], 2, v[2:3]
	v_add_co_u32 v2, vcc_lo, s52, v2
	v_add_co_ci_u32_e64 v3, null, s53, v3, vcc_lo
	global_load_dword v16, v[2:3], off
	s_inst_prefetch 0x1
	.p2align	6
.LBB7_164:                              ;   Parent Loop BB7_11 Depth=1
                                        ;     Parent Loop BB7_163 Depth=2
                                        ; =>    This Inner Loop Header: Depth=3
	v_add_nc_u32_e32 v2, s59, v1
	s_add_u32 s4, s50, s54
	s_addc_u32 s5, s51, s55
	global_load_dword v19, v8, s[50:51] offset:16
	v_add_nc_u32_e32 v17, s59, v4
	v_ashrrev_i32_e32 v3, 31, v2
	s_add_i32 s60, s60, -1
	s_add_u32 s50, s50, s42
	s_addc_u32 s51, s51, s43
	v_ashrrev_i32_e32 v18, 31, v17
	v_lshlrev_b64 v[2:3], 2, v[2:3]
	s_add_i32 s59, s59, s58
	s_cmp_eq_u32 s60, 0
	v_lshlrev_b64 v[17:18], 2, v[17:18]
	v_add_co_u32 v2, vcc_lo, s52, v2
	v_add_co_ci_u32_e64 v3, null, s53, v3, vcc_lo
	v_add_co_u32 v17, vcc_lo, s52, v17
	global_load_dword v20, v8, s[4:5]
	global_load_dword v21, v[2:3], off
	v_add_co_ci_u32_e64 v18, null, s53, v18, vcc_lo
	s_waitcnt vmcnt(0)
	v_mul_f32_e32 v22, v21, v20
	v_fma_f32 v22, v16, v19, -v22
	v_mul_f32_e32 v16, v16, v20
	global_store_dword v[17:18], v22, off
	v_fmac_f32_e32 v16, v21, v19
	s_cbranch_scc0 .LBB7_164
; %bb.165:                              ;   in Loop: Header=BB7_163 Depth=2
	s_inst_prefetch 0x2
	v_add_nc_u32_e32 v5, s31, v5
	v_add_nc_u32_e32 v4, s31, v4
	;; [unrolled: 1-line block ×3, first 2 shown]
	global_store_dword v[2:3], v16, off
	v_cmp_le_i32_e32 vcc_lo, s26, v5
	s_or_b32 s57, vcc_lo, s57
	s_andn2_b32 exec_lo, exec_lo, s57
	s_cbranch_execnz .LBB7_163
.LBB7_166:                              ;   in Loop: Header=BB7_11 Depth=1
	s_or_b32 exec_lo, exec_lo, s47
	s_andn2_b32 vcc_lo, exec_lo, s80
	s_cbranch_vccnz .LBB7_10
.LBB7_167:                              ;   in Loop: Header=BB7_11 Depth=1
	s_and_saveexec_b32 s9, s6
	s_cbranch_execz .LBB7_9
; %bb.168:                              ;   in Loop: Header=BB7_11 Depth=1
	s_load_dword s53, s[28:29], 0xc
	s_add_u32 s50, s38, s44
	s_addc_u32 s51, s39, s45
	s_add_i32 s4, s20, -1
	s_cmp_eq_u32 s46, 0
	v_mov_b32_e32 v16, v10
	s_cselect_b32 s4, s4, 0
	s_cselect_b32 s8, s20, 0
	s_add_i32 s4, s4, s21
	s_ashr_i32 s31, s30, 31
	s_ashr_i32 s5, s4, 31
	s_lshl_b64 s[42:43], s[48:49], 2
	s_lshl_b64 s[4:5], s[4:5], 2
	s_ashr_i32 s47, s46, 31
	s_lshl_b64 s[30:31], s[30:31], 2
	v_mov_b32_e32 v17, v0
	v_add_nc_u32_e32 v1, s8, v10
	s_mov_b32 s52, 0
	s_waitcnt lgkmcnt(0)
	s_and_b32 s21, s53, 0xffff
	s_add_u32 s4, s42, s4
	s_addc_u32 s5, s43, s5
	s_add_u32 s30, s4, s30
	s_addc_u32 s31, s5, s31
	s_sub_u32 s30, s30, s44
	s_subb_u32 s31, s31, s45
	s_add_u32 s48, s88, s30
	s_addc_u32 s49, s92, s31
	s_lshl_b32 s30, s46, 1
	s_mul_i32 s53, s37, s21
	s_add_i32 s30, s30, -2
	s_ashr_i32 s31, s30, 31
	s_lshl_b64 s[42:43], s[30:31], 2
	s_or_b32 s42, s42, 4
	s_add_u32 s54, s93, s4
	s_addc_u32 s55, s91, s5
	s_lshl_b64 s[4:5], s[46:47], 1
	s_ashr_i32 s44, s8, 31
	s_add_u32 s46, s4, s8
	s_addc_u32 s47, s5, s44
	s_or_b32 s30, s30, 1
.LBB7_169:                              ;   Parent Loop BB7_11 Depth=1
                                        ; =>  This Loop Header: Depth=2
                                        ;       Child Loop BB7_170 Depth 3
	v_mad_u64_u32 v[2:3], null, v17, s37, s[8:9]
	s_mov_b64 s[44:45], 0
	s_mov_b32 s56, s20
	v_ashrrev_i32_e32 v3, 31, v2
	v_lshlrev_b64 v[2:3], 2, v[2:3]
	v_add_co_u32 v2, vcc_lo, s50, v2
	v_add_co_ci_u32_e64 v3, null, s51, v3, vcc_lo
	global_load_dword v18, v[2:3], off
	v_ashrrev_i32_e32 v2, 31, v1
	v_ashrrev_i32_e32 v3, 31, v16
	v_lshlrev_b64 v[4:5], 2, v[1:2]
	v_add_co_u32 v2, vcc_lo, s46, v16
	v_add_co_ci_u32_e64 v3, null, s47, v3, vcc_lo
	v_add_co_u32 v19, vcc_lo, s50, v4
	v_add_co_ci_u32_e64 v20, null, s51, v5, vcc_lo
	s_inst_prefetch 0x1
	.p2align	6
.LBB7_170:                              ;   Parent Loop BB7_11 Depth=1
                                        ;     Parent Loop BB7_169 Depth=2
                                        ; =>    This Inner Loop Header: Depth=3
	v_lshlrev_b64 v[4:5], 2, v[2:3]
	s_add_u32 s4, s54, s44
	s_addc_u32 s5, s55, s45
	s_add_u32 s58, s48, s44
	s_addc_u32 s59, s49, s45
	s_add_i32 s56, s56, -1
	v_add_co_u32 v4, vcc_lo, s50, v4
	v_add_co_ci_u32_e64 v5, null, s51, v5, vcc_lo
	v_add_co_u32 v21, vcc_lo, v19, s44
	s_clause 0x1
	global_load_dword v23, v8, s[4:5]
	global_load_dword v24, v8, s[58:59]
	global_load_dword v25, v[4:5], off offset:-4
	v_add_co_ci_u32_e64 v22, null, s45, v20, vcc_lo
	v_add_co_u32 v2, vcc_lo, v2, s30
	v_add_co_ci_u32_e64 v3, null, s31, v3, vcc_lo
	s_add_u32 s44, s44, s42
	s_addc_u32 s45, s45, s43
	s_cmp_eq_u32 s56, 0
	s_waitcnt vmcnt(0)
	v_mul_f32_e32 v26, v25, v24
	v_fma_f32 v26, v18, v23, -v26
	v_mul_f32_e32 v18, v18, v24
	global_store_dword v[21:22], v26, off
	v_fmac_f32_e32 v18, v25, v23
	s_cbranch_scc0 .LBB7_170
; %bb.171:                              ;   in Loop: Header=BB7_169 Depth=2
	s_inst_prefetch 0x2
	v_add_nc_u32_e32 v17, s21, v17
	v_add_nc_u32_e32 v16, s53, v16
	;; [unrolled: 1-line block ×3, first 2 shown]
	global_store_dword v[4:5], v18, off offset:-4
	v_cmp_le_i32_e32 vcc_lo, s27, v17
	s_or_b32 s52, vcc_lo, s52
	s_andn2_b32 exec_lo, exec_lo, s52
	s_cbranch_execnz .LBB7_169
	s_branch .LBB7_9
.LBB7_172:
	s_endpgm
	.section	.rodata,"a",@progbits
	.p2align	6, 0x0
	.amdhsa_kernel _ZN9rocsolver6v33100L13bdsqr_computeILi256EffPfS2_S2_EEviiiiPT1_lS4_lT2_iilT3_iilT4_iiliS3_S3_S3_S3_PiS4_ilS8_
		.amdhsa_group_segment_fixed_size 1040
		.amdhsa_private_segment_fixed_size 0
		.amdhsa_kernarg_size 440
		.amdhsa_user_sgpr_count 6
		.amdhsa_user_sgpr_private_segment_buffer 1
		.amdhsa_user_sgpr_dispatch_ptr 0
		.amdhsa_user_sgpr_queue_ptr 0
		.amdhsa_user_sgpr_kernarg_segment_ptr 1
		.amdhsa_user_sgpr_dispatch_id 0
		.amdhsa_user_sgpr_flat_scratch_init 0
		.amdhsa_user_sgpr_private_segment_size 0
		.amdhsa_wavefront_size32 1
		.amdhsa_uses_dynamic_stack 0
		.amdhsa_system_sgpr_private_segment_wavefront_offset 0
		.amdhsa_system_sgpr_workgroup_id_x 1
		.amdhsa_system_sgpr_workgroup_id_y 1
		.amdhsa_system_sgpr_workgroup_id_z 1
		.amdhsa_system_sgpr_workgroup_info 0
		.amdhsa_system_vgpr_workitem_id 0
		.amdhsa_next_free_vgpr 28
		.amdhsa_next_free_sgpr 105
		.amdhsa_reserve_vcc 1
		.amdhsa_reserve_flat_scratch 0
		.amdhsa_float_round_mode_32 0
		.amdhsa_float_round_mode_16_64 0
		.amdhsa_float_denorm_mode_32 3
		.amdhsa_float_denorm_mode_16_64 3
		.amdhsa_dx10_clamp 1
		.amdhsa_ieee_mode 1
		.amdhsa_fp16_overflow 0
		.amdhsa_workgroup_processor_mode 1
		.amdhsa_memory_ordered 1
		.amdhsa_forward_progress 1
		.amdhsa_shared_vgpr_count 0
		.amdhsa_exception_fp_ieee_invalid_op 0
		.amdhsa_exception_fp_denorm_src 0
		.amdhsa_exception_fp_ieee_div_zero 0
		.amdhsa_exception_fp_ieee_overflow 0
		.amdhsa_exception_fp_ieee_underflow 0
		.amdhsa_exception_fp_ieee_inexact 0
		.amdhsa_exception_int_div_zero 0
	.end_amdhsa_kernel
	.section	.text._ZN9rocsolver6v33100L13bdsqr_computeILi256EffPfS2_S2_EEviiiiPT1_lS4_lT2_iilT3_iilT4_iiliS3_S3_S3_S3_PiS4_ilS8_,"axG",@progbits,_ZN9rocsolver6v33100L13bdsqr_computeILi256EffPfS2_S2_EEviiiiPT1_lS4_lT2_iilT3_iilT4_iiliS3_S3_S3_S3_PiS4_ilS8_,comdat
.Lfunc_end7:
	.size	_ZN9rocsolver6v33100L13bdsqr_computeILi256EffPfS2_S2_EEviiiiPT1_lS4_lT2_iilT3_iilT4_iiliS3_S3_S3_S3_PiS4_ilS8_, .Lfunc_end7-_ZN9rocsolver6v33100L13bdsqr_computeILi256EffPfS2_S2_EEviiiiPT1_lS4_lT2_iilT3_iilT4_iiliS3_S3_S3_S3_PiS4_ilS8_
                                        ; -- End function
	.set _ZN9rocsolver6v33100L13bdsqr_computeILi256EffPfS2_S2_EEviiiiPT1_lS4_lT2_iilT3_iilT4_iiliS3_S3_S3_S3_PiS4_ilS8_.num_vgpr, 28
	.set _ZN9rocsolver6v33100L13bdsqr_computeILi256EffPfS2_S2_EEviiiiPT1_lS4_lT2_iilT3_iilT4_iiliS3_S3_S3_S3_PiS4_ilS8_.num_agpr, 0
	.set _ZN9rocsolver6v33100L13bdsqr_computeILi256EffPfS2_S2_EEviiiiPT1_lS4_lT2_iilT3_iilT4_iiliS3_S3_S3_S3_PiS4_ilS8_.numbered_sgpr, 105
	.set _ZN9rocsolver6v33100L13bdsqr_computeILi256EffPfS2_S2_EEviiiiPT1_lS4_lT2_iilT3_iilT4_iiliS3_S3_S3_S3_PiS4_ilS8_.num_named_barrier, 0
	.set _ZN9rocsolver6v33100L13bdsqr_computeILi256EffPfS2_S2_EEviiiiPT1_lS4_lT2_iilT3_iilT4_iiliS3_S3_S3_S3_PiS4_ilS8_.private_seg_size, 0
	.set _ZN9rocsolver6v33100L13bdsqr_computeILi256EffPfS2_S2_EEviiiiPT1_lS4_lT2_iilT3_iilT4_iiliS3_S3_S3_S3_PiS4_ilS8_.uses_vcc, 1
	.set _ZN9rocsolver6v33100L13bdsqr_computeILi256EffPfS2_S2_EEviiiiPT1_lS4_lT2_iilT3_iilT4_iiliS3_S3_S3_S3_PiS4_ilS8_.uses_flat_scratch, 0
	.set _ZN9rocsolver6v33100L13bdsqr_computeILi256EffPfS2_S2_EEviiiiPT1_lS4_lT2_iilT3_iilT4_iiliS3_S3_S3_S3_PiS4_ilS8_.has_dyn_sized_stack, 0
	.set _ZN9rocsolver6v33100L13bdsqr_computeILi256EffPfS2_S2_EEviiiiPT1_lS4_lT2_iilT3_iilT4_iiliS3_S3_S3_S3_PiS4_ilS8_.has_recursion, 0
	.set _ZN9rocsolver6v33100L13bdsqr_computeILi256EffPfS2_S2_EEviiiiPT1_lS4_lT2_iilT3_iilT4_iiliS3_S3_S3_S3_PiS4_ilS8_.has_indirect_call, 0
	.section	.AMDGPU.csdata,"",@progbits
; Kernel info:
; codeLenInByte = 8648
; TotalNumSgprs: 107
; NumVgprs: 28
; ScratchSize: 0
; MemoryBound: 0
; FloatMode: 240
; IeeeMode: 1
; LDSByteSize: 1040 bytes/workgroup (compile time only)
; SGPRBlocks: 0
; VGPRBlocks: 3
; NumSGPRsForWavesPerEU: 107
; NumVGPRsForWavesPerEU: 28
; Occupancy: 16
; WaveLimiterHint : 1
; COMPUTE_PGM_RSRC2:SCRATCH_EN: 0
; COMPUTE_PGM_RSRC2:USER_SGPR: 6
; COMPUTE_PGM_RSRC2:TRAP_HANDLER: 0
; COMPUTE_PGM_RSRC2:TGID_X_EN: 1
; COMPUTE_PGM_RSRC2:TGID_Y_EN: 1
; COMPUTE_PGM_RSRC2:TGID_Z_EN: 1
; COMPUTE_PGM_RSRC2:TIDIG_COMP_CNT: 0
	.section	.text._ZN9rocsolver6v33100L12bdsqr_rotateIffPfS2_S2_EEviiiiT1_iilT2_iilT3_iiliPiPT0_ilS6_,"axG",@progbits,_ZN9rocsolver6v33100L12bdsqr_rotateIffPfS2_S2_EEviiiiT1_iilT2_iilT3_iiliPiPT0_ilS6_,comdat
	.globl	_ZN9rocsolver6v33100L12bdsqr_rotateIffPfS2_S2_EEviiiiT1_iilT2_iilT3_iiliPiPT0_ilS6_ ; -- Begin function _ZN9rocsolver6v33100L12bdsqr_rotateIffPfS2_S2_EEviiiiT1_iilT2_iilT3_iiliPiPT0_ilS6_
	.p2align	8
	.type	_ZN9rocsolver6v33100L12bdsqr_rotateIffPfS2_S2_EEviiiiT1_iilT2_iilT3_iiliPiPT0_ilS6_,@function
_ZN9rocsolver6v33100L12bdsqr_rotateIffPfS2_S2_EEviiiiT1_iilT2_iilT3_iiliPiPT0_ilS6_: ; @_ZN9rocsolver6v33100L12bdsqr_rotateIffPfS2_S2_EEviiiiT1_iilT2_iilT3_iiliPiPT0_ilS6_
; %bb.0:
	s_load_dwordx4 s[0:3], s[4:5], 0x78
	s_ashr_i32 s9, s8, 31
	s_lshl_b64 s[10:11], s[8:9], 2
	s_waitcnt lgkmcnt(0)
	s_add_u32 s2, s2, s10
	s_addc_u32 s3, s3, s11
	s_load_dword s2, s[2:3], 0x8
	s_waitcnt lgkmcnt(0)
	s_cmp_lg_u32 s2, 0
	s_cbranch_scc1 .LBB8_25
; %bb.1:
	s_load_dwordx8 s[12:19], s[4:5], 0x10
	s_add_u32 s24, s4, 0x88
	s_addc_u32 s25, s5, 0
	s_mov_b64 s[2:3], 0
	s_mov_b64 s[10:11], 0
	s_waitcnt lgkmcnt(0)
	s_cmp_eq_u64 s[12:13], 0
	s_cbranch_scc1 .LBB8_3
; %bb.2:
	s_mul_i32 s10, s16, s9
	s_mul_hi_u32 s11, s16, s8
	s_mul_i32 s17, s17, s8
	s_add_i32 s10, s11, s10
	s_add_i32 s11, s10, s17
	s_mul_i32 s10, s16, s8
	s_ashr_i32 s17, s14, 31
	s_lshl_b64 s[10:11], s[10:11], 2
	s_mov_b32 s16, s14
	s_add_u32 s12, s12, s10
	s_addc_u32 s13, s13, s11
	s_lshl_b64 s[10:11], s[16:17], 2
	s_add_u32 s10, s12, s10
	s_addc_u32 s11, s13, s11
.LBB8_3:
	s_clause 0x1
	s_load_dwordx2 s[12:13], s[4:5], 0x30
	s_load_dwordx4 s[20:23], s[4:5], 0x38
	s_cmp_eq_u64 s[18:19], 0
	s_cbranch_scc1 .LBB8_5
; %bb.4:
	s_waitcnt lgkmcnt(0)
	s_mul_i32 s2, s20, s9
	s_mul_hi_u32 s3, s20, s8
	s_mul_i32 s14, s21, s8
	s_add_i32 s2, s3, s2
	s_ashr_i32 s17, s12, 31
	s_add_i32 s3, s2, s14
	s_mul_i32 s2, s20, s8
	s_mov_b32 s16, s12
	s_lshl_b64 s[2:3], s[2:3], 2
	s_add_u32 s12, s18, s2
	s_addc_u32 s14, s19, s3
	s_lshl_b64 s[2:3], s[16:17], 2
	s_add_u32 s2, s12, s2
	s_addc_u32 s3, s14, s3
.LBB8_5:
	s_load_dwordx2 s[26:27], s[4:5], 0x48
	s_waitcnt lgkmcnt(0)
	s_cmp_eq_u64 s[22:23], 0
	s_mov_b64 s[20:21], 0
	s_cbranch_scc1 .LBB8_7
; %bb.6:
	s_load_dwordx2 s[16:17], s[4:5], 0x50
	s_ashr_i32 s19, s26, 31
	s_mov_b32 s18, s26
	s_waitcnt lgkmcnt(0)
	s_mul_i32 s12, s16, s9
	s_mul_hi_u32 s14, s16, s8
	s_mul_i32 s17, s17, s8
	s_add_i32 s12, s14, s12
	s_mul_i32 s16, s16, s8
	s_add_i32 s17, s12, s17
	s_lshl_b64 s[16:17], s[16:17], 2
	s_add_u32 s12, s22, s16
	s_addc_u32 s14, s23, s17
	s_lshl_b64 s[16:17], s[18:19], 2
	s_add_u32 s20, s12, s16
	s_addc_u32 s21, s14, s17
.LBB8_7:
	s_load_dwordx4 s[16:19], s[4:5], 0x60
	s_mul_i32 s9, s0, s9
	s_mul_hi_u32 s12, s0, s8
	s_mul_i32 s1, s1, s8
	s_add_i32 s9, s12, s9
	s_mul_i32 s0, s0, s8
	s_add_i32 s1, s9, s1
	s_lshl_b64 s[22:23], s[0:1], 2
	s_waitcnt lgkmcnt(0)
	s_add_u32 s0, s18, s22
	s_addc_u32 s1, s19, s23
	s_load_dword s0, s[0:1], 0x8
	s_waitcnt lgkmcnt(0)
	v_cvt_i32_f32_e32 v5, s0
	v_cmp_ge_i32_e32 vcc_lo, s7, v5
	s_cbranch_vccnz .LBB8_25
; %bb.8:
	s_clause 0x3
	s_load_dwordx4 s[36:39], s[4:5], 0x0
	s_load_dword s9, s[4:5], 0x94
	s_load_dword s12, s[4:5], 0x58
	;; [unrolled: 1-line block ×4, first 2 shown]
	v_mov_b32_e32 v8, 0
	s_waitcnt lgkmcnt(0)
	s_mul_i32 s0, s8, s36
	s_lshl_b32 s0, s0, 1
	s_ashr_i32 s1, s0, 31
	s_lshl_b64 s[0:1], s[0:1], 2
	s_add_u32 s28, s16, s0
	s_addc_u32 s29, s17, s1
	s_and_b32 s0, 0xffff, s9
	s_cmp_eq_u32 s37, 0
	v_mad_u64_u32 v[0:1], null, s6, s0, v[0:1]
	s_cselect_b32 s6, -1, 0
	s_cmp_lg_u64 s[10:11], 0
	s_cselect_b32 s1, -1, 0
	v_cmp_gt_i32_e32 vcc_lo, s37, v0
	v_cmp_gt_i32_e64 s0, s38, v0
	v_mul_lo_u32 v6, v0, s15
	v_mul_lo_u32 v7, v0, s27
	s_and_b32 s25, vcc_lo, s1
	s_cmp_lg_u64 s[2:3], 0
	v_cmp_gt_i32_e32 vcc_lo, s39, v0
	s_cselect_b32 s1, -1, 0
	s_and_b32 s30, s0, s1
	s_cmp_lg_u64 s[20:21], 0
	s_cselect_b32 s0, -1, 0
	s_and_b32 s27, vcc_lo, s0
	s_add_u32 s22, s18, s22
	s_addc_u32 s23, s19, s23
	s_add_u32 s31, s22, 20
	s_addc_u32 s33, s23, 0
	;; [unrolled: 2-line block ×3, first 2 shown]
	s_branch .LBB8_12
.LBB8_9:                                ;   in Loop: Header=BB8_12 Depth=1
	v_sub_co_u32 v1, vcc_lo, v3, s4
	v_subrev_co_ci_u32_e64 v2, null, s5, v4, vcc_lo
	v_add_co_u32 v1, vcc_lo, s20, v1
	v_add_co_ci_u32_e64 v2, null, s21, v2, vcc_lo
	v_add_co_u32 v1, vcc_lo, v1, s8
	v_add_co_ci_u32_e64 v2, null, s9, v2, vcc_lo
	global_store_dword v[1:2], v9, off
.LBB8_10:                               ;   in Loop: Header=BB8_12 Depth=1
	s_or_b32 exec_lo, exec_lo, s16
.LBB8_11:                               ;   in Loop: Header=BB8_12 Depth=1
	s_add_i32 s7, s24, s7
	v_cmp_lt_i32_e32 vcc_lo, s7, v5
	s_cbranch_vccz .LBB8_25
.LBB8_12:                               ; =>This Loop Header: Depth=1
                                        ;     Child Loop BB8_16 Depth 2
                                        ;     Child Loop BB8_20 Depth 2
	;; [unrolled: 1-line block ×3, first 2 shown]
	s_lshl_b32 s0, s7, 2
	s_ashr_i32 s1, s0, 31
	s_lshl_b64 s[0:1], s[0:1], 2
	s_add_u32 s0, s28, s0
	s_addc_u32 s1, s29, s1
	s_clause 0x1
	s_load_dwordx2 s[4:5], s[0:1], 0x0
	s_load_dword s14, s[0:1], 0x8
	s_waitcnt lgkmcnt(0)
	s_cmp_le_i32 s14, s5
	s_cbranch_scc1 .LBB8_11
; %bb.13:                               ;   in Loop: Header=BB8_12 Depth=1
	s_load_dword s0, s[0:1], 0xc
	s_waitcnt lgkmcnt(0)
	s_cmp_lt_i32 s0, s12
	s_cselect_b32 s0, -1, 0
	s_cmp_lg_u32 s4, 0
	s_cselect_b32 s1, -1, 0
	s_and_b32 s0, s0, s1
	s_andn2_b32 vcc_lo, exec_lo, s0
	s_cbranch_vccnz .LBB8_11
; %bb.14:                               ;   in Loop: Header=BB8_12 Depth=1
	s_mul_i32 s8, s5, s26
	s_ashr_i32 s9, s8, 31
	s_cmp_gt_i32 s4, 0
	s_cselect_b32 s36, -1, 0
	s_sub_i32 s0, s14, s5
	s_and_saveexec_b32 s1, s25
	s_cbranch_execz .LBB8_18
; %bb.15:                               ;   in Loop: Header=BB8_12 Depth=1
	s_and_b32 s15, s36, exec_lo
	s_cselect_b32 s15, s5, s14
	s_mov_b32 s40, s0
	v_add_nc_u32_e32 v3, s15, v6
	s_add_i32 s15, s0, -1
	s_and_b32 s16, s36, exec_lo
	s_cselect_b32 s16, 0, s15
	s_ashr_i32 s15, s14, 31
	v_ashrrev_i32_e32 v4, 31, v3
	s_ashr_i32 s17, s16, 31
	s_lshl_b64 s[18:19], s[8:9], 2
	s_lshl_b64 s[16:17], s[16:17], 2
	;; [unrolled: 1-line block ×3, first 2 shown]
	v_lshlrev_b64 v[1:2], 2, v[3:4]
	v_add_nc_u32_e32 v3, s4, v3
	s_add_u32 s18, s16, s18
	s_addc_u32 s19, s17, s19
	s_add_u32 s15, s18, s38
	s_addc_u32 s37, s19, s39
	v_add_co_u32 v1, vcc_lo, s10, v1
	v_add_co_ci_u32_e64 v2, null, s11, v2, vcc_lo
	v_ashrrev_i32_e32 v4, 31, v3
	s_ashr_i32 s17, s5, 31
	s_mov_b32 s16, s5
	global_load_dword v9, v[1:2], off
	s_lshl_b64 s[16:17], s[16:17], 2
	v_lshlrev_b64 v[3:4], 2, v[3:4]
	s_sub_u32 s15, s15, s16
	s_subb_u32 s16, s37, s17
	s_add_u32 s15, s31, s15
	s_addc_u32 s37, s33, s16
	s_ashr_i32 s17, s4, 31
	v_add_co_u32 v10, vcc_lo, s10, v3
	s_mov_b32 s16, s4
	v_add_co_ci_u32_e64 v11, null, s11, v4, vcc_lo
	s_lshl_b64 s[16:17], s[16:17], 2
	s_add_u32 s38, s34, s18
	s_addc_u32 s39, s35, s19
	s_mov_b64 s[18:19], 0
	.p2align	6
.LBB8_16:                               ;   Parent Loop BB8_12 Depth=1
                                        ; =>  This Inner Loop Header: Depth=2
	v_add_co_u32 v12, vcc_lo, v10, s18
	v_add_co_ci_u32_e64 v13, null, s19, v11, vcc_lo
	s_add_u32 s42, s38, s18
	s_addc_u32 s43, s39, s19
	s_add_u32 s44, s15, s18
	s_addc_u32 s45, s37, s19
	global_load_dword v14, v8, s[42:43]
	global_load_dword v15, v[12:13], off
	global_load_dword v13, v8, s[44:45]
	v_add_co_u32 v12, vcc_lo, v1, s18
	s_add_i32 s40, s40, -1
	s_add_u32 s18, s18, s16
	s_waitcnt vmcnt(0)
	v_mul_f32_e32 v16, v15, v13
	v_fma_f32 v16, v9, v14, -v16
	v_mul_f32_e32 v9, v9, v13
	v_add_co_ci_u32_e64 v13, null, s19, v2, vcc_lo
	s_addc_u32 s19, s19, s17
	s_cmp_eq_u32 s40, 0
	v_fmac_f32_e32 v9, v15, v14
	global_store_dword v[12:13], v16, off
	s_cbranch_scc0 .LBB8_16
; %bb.17:                               ;   in Loop: Header=BB8_12 Depth=1
	v_sub_co_u32 v1, vcc_lo, v3, s16
	v_subrev_co_ci_u32_e64 v2, null, s17, v4, vcc_lo
	v_add_co_u32 v1, vcc_lo, s10, v1
	v_add_co_ci_u32_e64 v2, null, s11, v2, vcc_lo
	v_add_co_u32 v1, vcc_lo, v1, s18
	v_add_co_ci_u32_e64 v2, null, s19, v2, vcc_lo
	global_store_dword v[1:2], v9, off
.LBB8_18:                               ;   in Loop: Header=BB8_12 Depth=1
	s_or_b32 exec_lo, exec_lo, s1
	s_lshl_b32 s1, s0, 1
	s_add_i32 s1, s1, 2
	s_and_b32 s15, s6, exec_lo
	s_cselect_b32 s15, 0, s1
	s_and_saveexec_b32 s37, s30
	s_cbranch_execz .LBB8_22
; %bb.19:                               ;   in Loop: Header=BB8_12 Depth=1
	s_and_b32 s1, s36, exec_lo
	s_cselect_b32 s40, s5, s14
	s_add_i32 s1, s0, -1
	s_mul_i32 s38, s40, s13
	s_and_b32 s16, s36, exec_lo
	v_add_nc_u32_e32 v1, s38, v0
	s_cselect_b32 s18, 0, s1
	s_ashr_i32 s1, s0, 31
	s_add_i32 s18, s15, s18
	s_lshl_b64 s[16:17], s[0:1], 2
	v_ashrrev_i32_e32 v2, 31, v1
	s_add_u32 s1, s16, 20
	s_addc_u32 s39, s17, 0
	s_ashr_i32 s19, s18, 31
	s_lshl_b64 s[16:17], s[8:9], 2
	v_lshlrev_b64 v[1:2], 2, v[1:2]
	s_lshl_b64 s[18:19], s[18:19], 2
	v_mov_b32_e32 v4, v0
	s_add_u32 s16, s16, s18
	s_addc_u32 s17, s17, s19
	s_add_u32 s16, s22, s16
	v_add_co_u32 v1, vcc_lo, s2, v1
	v_add_co_ci_u32_e64 v2, null, s3, v2, vcc_lo
	s_addc_u32 s17, s23, s17
	s_ashr_i32 s19, s4, 31
	s_mov_b32 s18, s4
	global_load_dword v3, v[1:2], off
	s_add_i32 s40, s40, s4
	s_lshl_b64 s[18:19], s[18:19], 2
	s_mul_i32 s40, s13, s40
	s_mul_i32 s41, s13, s4
	s_mov_b32 s42, s0
	s_inst_prefetch 0x1
	.p2align	6
.LBB8_20:                               ;   Parent Loop BB8_12 Depth=1
                                        ; =>  This Inner Loop Header: Depth=2
	v_add_nc_u32_e32 v1, s40, v4
	s_add_u32 s44, s16, s1
	s_addc_u32 s45, s17, s39
	global_load_dword v11, v8, s[16:17] offset:16
	v_add_nc_u32_e32 v9, s38, v4
	v_ashrrev_i32_e32 v2, 31, v1
	v_add_nc_u32_e32 v4, s41, v4
	s_add_i32 s42, s42, -1
	s_add_u32 s16, s16, s18
	v_ashrrev_i32_e32 v10, 31, v9
	v_lshlrev_b64 v[1:2], 2, v[1:2]
	s_addc_u32 s17, s17, s19
	s_cmp_eq_u32 s42, 0
	v_lshlrev_b64 v[9:10], 2, v[9:10]
	v_add_co_u32 v1, vcc_lo, s2, v1
	v_add_co_ci_u32_e64 v2, null, s3, v2, vcc_lo
	v_add_co_u32 v9, vcc_lo, s2, v9
	global_load_dword v12, v8, s[44:45]
	global_load_dword v13, v[1:2], off
	v_add_co_ci_u32_e64 v10, null, s3, v10, vcc_lo
	s_waitcnt vmcnt(0)
	v_mul_f32_e32 v14, v13, v12
	v_fma_f32 v14, v3, v11, -v14
	v_mul_f32_e32 v3, v3, v12
	global_store_dword v[9:10], v14, off
	v_fmac_f32_e32 v3, v13, v11
	s_cbranch_scc0 .LBB8_20
; %bb.21:                               ;   in Loop: Header=BB8_12 Depth=1
	s_inst_prefetch 0x2
	global_store_dword v[1:2], v3, off
.LBB8_22:                               ;   in Loop: Header=BB8_12 Depth=1
	s_or_b32 exec_lo, exec_lo, s37
	s_and_saveexec_b32 s16, s27
	s_cbranch_execz .LBB8_10
; %bb.23:                               ;   in Loop: Header=BB8_12 Depth=1
	s_and_b32 s1, s36, exec_lo
	s_cselect_b32 s1, s5, s14
	v_add_nc_u32_e32 v3, s1, v7
	s_add_i32 s1, s0, -1
	s_and_b32 s5, s36, exec_lo
	s_cselect_b32 s1, 0, s1
	s_lshl_b64 s[8:9], s[8:9], 2
	v_ashrrev_i32_e32 v4, 31, v3
	s_add_i32 s14, s15, s1
	s_ashr_i32 s1, s0, 31
	s_ashr_i32 s15, s14, 31
	s_lshl_b64 s[14:15], s[14:15], 2
	v_lshlrev_b64 v[1:2], 2, v[3:4]
	v_add_nc_u32_e32 v3, s4, v3
	s_add_u32 s17, s8, s14
	s_addc_u32 s18, s9, s15
	s_lshl_b64 s[8:9], s[0:1], 2
	v_add_co_u32 v1, vcc_lo, s20, v1
	v_add_co_ci_u32_e64 v2, null, s21, v2, vcc_lo
	v_ashrrev_i32_e32 v4, 31, v3
	s_add_u32 s1, s17, s8
	s_addc_u32 s5, s18, s9
	global_load_dword v9, v[1:2], off
	s_add_u32 s1, s31, s1
	v_lshlrev_b64 v[3:4], 2, v[3:4]
	s_addc_u32 s14, s33, s5
	s_ashr_i32 s5, s4, 31
	s_mov_b64 s[8:9], 0
	s_lshl_b64 s[4:5], s[4:5], 2
	s_add_u32 s15, s34, s17
	v_add_co_u32 v10, vcc_lo, s20, v3
	v_add_co_ci_u32_e64 v11, null, s21, v4, vcc_lo
	s_addc_u32 s17, s35, s18
	.p2align	6
.LBB8_24:                               ;   Parent Loop BB8_12 Depth=1
                                        ; =>  This Inner Loop Header: Depth=2
	v_add_co_u32 v12, vcc_lo, v10, s8
	v_add_co_ci_u32_e64 v13, null, s9, v11, vcc_lo
	s_add_u32 s18, s15, s8
	s_addc_u32 s19, s17, s9
	s_add_u32 s36, s1, s8
	s_addc_u32 s37, s14, s9
	global_load_dword v14, v8, s[18:19]
	global_load_dword v15, v[12:13], off
	global_load_dword v13, v8, s[36:37]
	v_add_co_u32 v12, vcc_lo, v1, s8
	s_add_i32 s0, s0, -1
	s_add_u32 s8, s8, s4
	s_waitcnt vmcnt(0)
	v_mul_f32_e32 v16, v15, v13
	v_fma_f32 v16, v9, v14, -v16
	v_mul_f32_e32 v9, v9, v13
	v_add_co_ci_u32_e64 v13, null, s9, v2, vcc_lo
	s_addc_u32 s9, s9, s5
	s_cmp_eq_u32 s0, 0
	v_fmac_f32_e32 v9, v15, v14
	global_store_dword v[12:13], v16, off
	s_cbranch_scc0 .LBB8_24
	s_branch .LBB8_9
.LBB8_25:
	s_endpgm
	.section	.rodata,"a",@progbits
	.p2align	6, 0x0
	.amdhsa_kernel _ZN9rocsolver6v33100L12bdsqr_rotateIffPfS2_S2_EEviiiiT1_iilT2_iilT3_iiliPiPT0_ilS6_
		.amdhsa_group_segment_fixed_size 0
		.amdhsa_private_segment_fixed_size 0
		.amdhsa_kernarg_size 392
		.amdhsa_user_sgpr_count 6
		.amdhsa_user_sgpr_private_segment_buffer 1
		.amdhsa_user_sgpr_dispatch_ptr 0
		.amdhsa_user_sgpr_queue_ptr 0
		.amdhsa_user_sgpr_kernarg_segment_ptr 1
		.amdhsa_user_sgpr_dispatch_id 0
		.amdhsa_user_sgpr_flat_scratch_init 0
		.amdhsa_user_sgpr_private_segment_size 0
		.amdhsa_wavefront_size32 1
		.amdhsa_uses_dynamic_stack 0
		.amdhsa_system_sgpr_private_segment_wavefront_offset 0
		.amdhsa_system_sgpr_workgroup_id_x 1
		.amdhsa_system_sgpr_workgroup_id_y 1
		.amdhsa_system_sgpr_workgroup_id_z 1
		.amdhsa_system_sgpr_workgroup_info 0
		.amdhsa_system_vgpr_workitem_id 0
		.amdhsa_next_free_vgpr 17
		.amdhsa_next_free_sgpr 46
		.amdhsa_reserve_vcc 1
		.amdhsa_reserve_flat_scratch 0
		.amdhsa_float_round_mode_32 0
		.amdhsa_float_round_mode_16_64 0
		.amdhsa_float_denorm_mode_32 3
		.amdhsa_float_denorm_mode_16_64 3
		.amdhsa_dx10_clamp 1
		.amdhsa_ieee_mode 1
		.amdhsa_fp16_overflow 0
		.amdhsa_workgroup_processor_mode 1
		.amdhsa_memory_ordered 1
		.amdhsa_forward_progress 1
		.amdhsa_shared_vgpr_count 0
		.amdhsa_exception_fp_ieee_invalid_op 0
		.amdhsa_exception_fp_denorm_src 0
		.amdhsa_exception_fp_ieee_div_zero 0
		.amdhsa_exception_fp_ieee_overflow 0
		.amdhsa_exception_fp_ieee_underflow 0
		.amdhsa_exception_fp_ieee_inexact 0
		.amdhsa_exception_int_div_zero 0
	.end_amdhsa_kernel
	.section	.text._ZN9rocsolver6v33100L12bdsqr_rotateIffPfS2_S2_EEviiiiT1_iilT2_iilT3_iiliPiPT0_ilS6_,"axG",@progbits,_ZN9rocsolver6v33100L12bdsqr_rotateIffPfS2_S2_EEviiiiT1_iilT2_iilT3_iiliPiPT0_ilS6_,comdat
.Lfunc_end8:
	.size	_ZN9rocsolver6v33100L12bdsqr_rotateIffPfS2_S2_EEviiiiT1_iilT2_iilT3_iiliPiPT0_ilS6_, .Lfunc_end8-_ZN9rocsolver6v33100L12bdsqr_rotateIffPfS2_S2_EEviiiiT1_iilT2_iilT3_iiliPiPT0_ilS6_
                                        ; -- End function
	.set _ZN9rocsolver6v33100L12bdsqr_rotateIffPfS2_S2_EEviiiiT1_iilT2_iilT3_iiliPiPT0_ilS6_.num_vgpr, 17
	.set _ZN9rocsolver6v33100L12bdsqr_rotateIffPfS2_S2_EEviiiiT1_iilT2_iilT3_iiliPiPT0_ilS6_.num_agpr, 0
	.set _ZN9rocsolver6v33100L12bdsqr_rotateIffPfS2_S2_EEviiiiT1_iilT2_iilT3_iiliPiPT0_ilS6_.numbered_sgpr, 46
	.set _ZN9rocsolver6v33100L12bdsqr_rotateIffPfS2_S2_EEviiiiT1_iilT2_iilT3_iiliPiPT0_ilS6_.num_named_barrier, 0
	.set _ZN9rocsolver6v33100L12bdsqr_rotateIffPfS2_S2_EEviiiiT1_iilT2_iilT3_iiliPiPT0_ilS6_.private_seg_size, 0
	.set _ZN9rocsolver6v33100L12bdsqr_rotateIffPfS2_S2_EEviiiiT1_iilT2_iilT3_iiliPiPT0_ilS6_.uses_vcc, 1
	.set _ZN9rocsolver6v33100L12bdsqr_rotateIffPfS2_S2_EEviiiiT1_iilT2_iilT3_iiliPiPT0_ilS6_.uses_flat_scratch, 0
	.set _ZN9rocsolver6v33100L12bdsqr_rotateIffPfS2_S2_EEviiiiT1_iilT2_iilT3_iiliPiPT0_ilS6_.has_dyn_sized_stack, 0
	.set _ZN9rocsolver6v33100L12bdsqr_rotateIffPfS2_S2_EEviiiiT1_iilT2_iilT3_iiliPiPT0_ilS6_.has_recursion, 0
	.set _ZN9rocsolver6v33100L12bdsqr_rotateIffPfS2_S2_EEviiiiT1_iilT2_iilT3_iiliPiPT0_ilS6_.has_indirect_call, 0
	.section	.AMDGPU.csdata,"",@progbits
; Kernel info:
; codeLenInByte = 1924
; TotalNumSgprs: 48
; NumVgprs: 17
; ScratchSize: 0
; MemoryBound: 0
; FloatMode: 240
; IeeeMode: 1
; LDSByteSize: 0 bytes/workgroup (compile time only)
; SGPRBlocks: 0
; VGPRBlocks: 2
; NumSGPRsForWavesPerEU: 48
; NumVGPRsForWavesPerEU: 17
; Occupancy: 16
; WaveLimiterHint : 1
; COMPUTE_PGM_RSRC2:SCRATCH_EN: 0
; COMPUTE_PGM_RSRC2:USER_SGPR: 6
; COMPUTE_PGM_RSRC2:TRAP_HANDLER: 0
; COMPUTE_PGM_RSRC2:TGID_X_EN: 1
; COMPUTE_PGM_RSRC2:TGID_Y_EN: 1
; COMPUTE_PGM_RSRC2:TGID_Z_EN: 1
; COMPUTE_PGM_RSRC2:TIDIG_COMP_CNT: 0
	.section	.text._ZN9rocsolver6v33100L22bdsqr_update_endpointsIffEEviPT0_lPiS3_lS4_,"axG",@progbits,_ZN9rocsolver6v33100L22bdsqr_update_endpointsIffEEviPT0_lPiS3_lS4_,comdat
	.globl	_ZN9rocsolver6v33100L22bdsqr_update_endpointsIffEEviPT0_lPiS3_lS4_ ; -- Begin function _ZN9rocsolver6v33100L22bdsqr_update_endpointsIffEEviPT0_lPiS3_lS4_
	.p2align	8
	.type	_ZN9rocsolver6v33100L22bdsqr_update_endpointsIffEEviPT0_lPiS3_lS4_,@function
_ZN9rocsolver6v33100L22bdsqr_update_endpointsIffEEviPT0_lPiS3_lS4_: ; @_ZN9rocsolver6v33100L22bdsqr_update_endpointsIffEEviPT0_lPiS3_lS4_
; %bb.0:
	s_load_dwordx4 s[0:3], s[4:5], 0x28
	s_ashr_i32 s9, s8, 31
	s_lshl_b64 s[10:11], s[8:9], 2
	s_waitcnt lgkmcnt(0)
	s_add_u32 s2, s2, s10
	s_addc_u32 s3, s3, s11
	s_load_dword s2, s[2:3], 0x8
	s_waitcnt lgkmcnt(0)
	s_cmp_lg_u32 s2, 0
	s_cbranch_scc1 .LBB9_31
; %bb.1:
	s_load_dwordx8 s[12:19], s[4:5], 0x8
	s_mul_i32 s2, s0, s9
	s_mul_hi_u32 s3, s0, s8
	s_mul_i32 s1, s1, s8
	s_add_i32 s2, s3, s2
	s_mul_i32 s0, s0, s8
	s_add_i32 s1, s2, s1
	s_lshl_b64 s[0:1], s[0:1], 2
	s_waitcnt lgkmcnt(0)
	s_add_u32 s2, s18, s0
	s_addc_u32 s3, s19, s1
	s_load_dwordx2 s[10:11], s[2:3], 0x4
	s_waitcnt lgkmcnt(0)
	v_cvt_i32_f32_e32 v4, s11
	v_cmp_ge_i32_e32 vcc_lo, s7, v4
	s_cbranch_vccnz .LBB9_31
; %bb.2:
	s_load_dword s18, s[4:5], 0x0
	s_mul_i32 s1, s14, s9
	s_mul_hi_u32 s6, s14, s8
	s_mul_i32 s9, s15, s8
	s_add_i32 s1, s6, s1
	s_load_dword s6, s[4:5], 0x3c
	s_mul_i32 s0, s14, s8
	s_add_i32 s1, s1, s9
	v_cvt_f32_i32_e32 v5, v4
	s_lshl_b64 s[0:1], s[0:1], 2
	v_mov_b32_e32 v6, 0
	s_add_u32 s11, s12, s0
	s_waitcnt lgkmcnt(0)
	s_mul_i32 s0, s8, s18
	s_addc_u32 s18, s13, s1
	s_lshl_b32 s0, s0, 1
	s_ashr_i32 s1, s0, 31
	s_lshl_b64 s[0:1], s[0:1], 2
	s_add_u32 s19, s16, s0
	s_addc_u32 s20, s17, s1
	s_add_u32 s21, s11, -4
	s_addc_u32 s22, s18, -1
	s_branch .LBB9_5
.LBB9_3:                                ;   in Loop: Header=BB9_5 Depth=1
	s_mov_b32 s8, s12
.LBB9_4:                                ;   in Loop: Header=BB9_5 Depth=1
	s_add_i32 s7, s6, s7
	v_mov_b32_e32 v0, s8
	v_cmp_lt_i32_e32 vcc_lo, s7, v4
	v_mov_b32_e32 v1, s13
	global_store_dwordx2 v6, v[0:1], s[4:5] offset:4
	s_cbranch_vccz .LBB9_31
.LBB9_5:                                ; =>This Loop Header: Depth=1
                                        ;     Child Loop BB9_10 Depth 2
                                        ;     Child Loop BB9_15 Depth 2
	;; [unrolled: 1-line block ×3, first 2 shown]
                                        ;       Child Loop BB9_29 Depth 3
	s_lshl_b32 s0, s7, 2
	s_ashr_i32 s1, s0, 31
	s_lshl_b64 s[0:1], s[0:1], 2
	s_add_u32 s4, s19, s0
	s_addc_u32 s5, s20, s1
	global_load_dwordx4 v[0:3], v6, s[4:5]
	s_waitcnt vmcnt(0)
	v_cmp_eq_u32_e64 s0, 0, v0
	v_readfirstlane_b32 s14, v1
	v_readfirstlane_b32 s12, v2
	s_and_b32 vcc_lo, exec_lo, s0
	s_cbranch_vccnz .LBB9_7
; %bb.6:                                ;   in Loop: Header=BB9_5 Depth=1
	s_sub_i32 s1, s12, s14
	v_add_nc_u32_e32 v3, s1, v3
	global_store_dword v6, v3, s[4:5] offset:12
.LBB9_7:                                ;   in Loop: Header=BB9_5 Depth=1
	s_cmp_le_i32 s12, s14
	s_cbranch_scc1 .LBB9_17
; %bb.8:                                ;   in Loop: Header=BB9_5 Depth=1
	s_ashr_i32 s15, s14, 31
	s_lshl_b64 s[8:9], s[14:15], 2
	s_add_u32 s16, s11, s8
	s_addc_u32 s17, s18, s9
	s_branch .LBB9_10
	.p2align	6
.LBB9_9:                                ;   in Loop: Header=BB9_10 Depth=2
	s_add_i32 s14, s14, 1
	global_store_dword v6, v6, s[16:17]
	s_add_u32 s16, s16, 4
	s_addc_u32 s17, s17, 0
	s_cmp_ge_i32 s14, s12
	s_mov_b32 s8, s12
	s_cselect_b32 s1, -1, 0
	s_andn2_b32 vcc_lo, exec_lo, s1
	s_cbranch_vccz .LBB9_12
.LBB9_10:                               ;   Parent Loop BB9_5 Depth=1
                                        ; =>  This Inner Loop Header: Depth=2
	global_load_dword v0, v6, s[16:17]
	s_waitcnt vmcnt(0)
	v_cmp_nlt_f32_e64 s1, |v0|, s10
	s_and_b32 vcc_lo, exec_lo, s1
	s_mov_b32 s1, -1
	s_cbranch_vccz .LBB9_9
; %bb.11:                               ;   in Loop: Header=BB9_10 Depth=2
	s_mov_b32 s8, s14
                                        ; implicit-def: $sgpr14
                                        ; implicit-def: $sgpr16_sgpr17
	s_andn2_b32 vcc_lo, exec_lo, s1
	s_cbranch_vccnz .LBB9_10
.LBB9_12:                               ;   in Loop: Header=BB9_5 Depth=1
	s_cmp_le_i32 s12, s8
	s_cbranch_scc1 .LBB9_18
.LBB9_13:                               ;   in Loop: Header=BB9_5 Depth=1
	s_ashr_i32 s13, s12, 31
	s_lshl_b64 s[14:15], s[12:13], 2
	s_add_u32 s14, s21, s14
	s_addc_u32 s15, s22, s15
	s_branch .LBB9_15
	.p2align	6
.LBB9_14:                               ;   in Loop: Header=BB9_15 Depth=2
	s_add_i32 s12, s12, -1
	global_store_dword v6, v6, s[14:15]
	s_add_u32 s14, s14, -4
	s_addc_u32 s15, s15, -1
	s_cmp_le_i32 s12, s8
	s_mov_b32 s13, s8
	s_cselect_b32 s1, -1, 0
	s_andn2_b32 vcc_lo, exec_lo, s1
	s_cbranch_vccz .LBB9_19
.LBB9_15:                               ;   Parent Loop BB9_5 Depth=1
                                        ; =>  This Inner Loop Header: Depth=2
	global_load_dword v0, v6, s[14:15]
	s_waitcnt vmcnt(0)
	v_cmp_nlt_f32_e64 s1, |v0|, s10
	s_and_b32 vcc_lo, exec_lo, s1
	s_mov_b32 s1, -1
	s_cbranch_vccz .LBB9_14
; %bb.16:                               ;   in Loop: Header=BB9_15 Depth=2
	s_mov_b32 s13, s12
                                        ; implicit-def: $sgpr12
                                        ; implicit-def: $sgpr14_sgpr15
	s_andn2_b32 vcc_lo, exec_lo, s1
	s_cbranch_vccnz .LBB9_15
	s_branch .LBB9_19
.LBB9_17:                               ;   in Loop: Header=BB9_5 Depth=1
	s_mov_b32 s8, s14
	s_cmp_le_i32 s12, s8
	s_cbranch_scc0 .LBB9_13
.LBB9_18:                               ;   in Loop: Header=BB9_5 Depth=1
	s_mov_b32 s13, s12
.LBB9_19:                               ;   in Loop: Header=BB9_5 Depth=1
	s_cmp_lt_i32 s8, s13
	s_mov_b32 s12, s8
	s_cselect_b32 s1, -1, 0
	s_and_b32 s0, s0, s1
	s_andn2_b32 vcc_lo, exec_lo, s0
	s_cbranch_vccz .LBB9_23
	s_branch .LBB9_4
.LBB9_20:                               ;   in Loop: Header=BB9_23 Depth=2
	s_or_b32 exec_lo, exec_lo, s9
.LBB9_21:                               ;   in Loop: Header=BB9_23 Depth=2
	s_or_b32 exec_lo, exec_lo, s1
	v_readfirstlane_b32 s0, v1
	v_cvt_f32_ubyte0_e32 v0, v0
	v_mov_b32_e32 v2, s8
	v_add_f32_e32 v0, s0, v0
	v_cndmask_b32_e64 v0, v0, s0, vcc_lo
	v_add_f32_e32 v0, v0, v5
	v_cvt_i32_f32_e32 v0, v0
	v_lshlrev_b32_e32 v0, 2, v0
	v_ashrrev_i32_e32 v1, 31, v0
	v_lshlrev_b64 v[7:8], 2, v[0:1]
	v_mov_b32_e32 v1, s12
	v_add_co_u32 v7, vcc_lo, s19, v7
	v_add_co_ci_u32_e64 v8, null, s20, v8, vcc_lo
	global_store_dwordx3 v[7:8], v[1:3], off offset:4
.LBB9_22:                               ;   in Loop: Header=BB9_23 Depth=2
	s_add_i32 s12, s8, 1
	s_mov_b32 s8, s12
	s_cmp_lt_i32 s8, s13
	s_cbranch_scc0 .LBB9_3
.LBB9_23:                               ;   Parent Loop BB9_5 Depth=1
                                        ; =>  This Loop Header: Depth=2
                                        ;       Child Loop BB9_29 Depth 3
	s_ashr_i32 s9, s8, 31
	s_mov_b32 s14, -1
	s_lshl_b64 s[0:1], s[8:9], 2
	s_add_u32 s0, s11, s0
	s_addc_u32 s1, s18, s1
	global_load_dword v0, v6, s[0:1]
	s_waitcnt vmcnt(0)
	v_cmp_lt_f32_e64 s9, |v0|, s10
	s_and_b32 vcc_lo, exec_lo, s9
                                        ; implicit-def: $sgpr9
	s_cbranch_vccnz .LBB9_25
; %bb.24:                               ;   in Loop: Header=BB9_23 Depth=2
	s_add_i32 s9, s8, 1
	s_mov_b32 s14, 0
.LBB9_25:                               ;   in Loop: Header=BB9_23 Depth=2
	s_andn2_b32 vcc_lo, exec_lo, s14
	s_cbranch_vccnz .LBB9_30
; %bb.26:                               ;   in Loop: Header=BB9_23 Depth=2
	s_cmp_ge_i32 s12, s8
	global_store_dword v6, v6, s[0:1]
	s_cbranch_scc1 .LBB9_22
; %bb.27:                               ;   in Loop: Header=BB9_23 Depth=2
	s_mov_b32 s0, exec_lo
                                        ; implicit-def: $vgpr1
	v_mbcnt_lo_u32_b32 v0, s0, 0
	v_cmp_eq_u32_e32 vcc_lo, 0, v0
	s_and_saveexec_b32 s1, vcc_lo
	s_cbranch_execz .LBB9_21
; %bb.28:                               ;   in Loop: Header=BB9_23 Depth=2
	global_load_dword v1, v6, s[2:3] offset:12
	s_bcnt1_i32_b32 s0, s0
	s_mov_b32 s9, 0
	v_cvt_f32_ubyte0_e32 v2, s0
.LBB9_29:                               ;   Parent Loop BB9_5 Depth=1
                                        ;     Parent Loop BB9_23 Depth=2
                                        ; =>    This Inner Loop Header: Depth=3
	s_waitcnt vmcnt(0)
	v_mov_b32_e32 v8, v1
	v_add_f32_e32 v7, v8, v2
	global_atomic_cmpswap v1, v6, v[7:8], s[2:3] offset:12 glc
	s_waitcnt vmcnt(0)
	v_cmp_eq_u32_e64 s0, v1, v8
	s_or_b32 s9, s0, s9
	s_andn2_b32 exec_lo, exec_lo, s9
	s_cbranch_execnz .LBB9_29
	s_branch .LBB9_20
.LBB9_30:                               ;   in Loop: Header=BB9_23 Depth=2
	s_mov_b32 s8, s9
	s_cmp_lt_i32 s8, s13
	s_cbranch_scc1 .LBB9_23
	s_branch .LBB9_3
.LBB9_31:
	s_endpgm
	.section	.rodata,"a",@progbits
	.p2align	6, 0x0
	.amdhsa_kernel _ZN9rocsolver6v33100L22bdsqr_update_endpointsIffEEviPT0_lPiS3_lS4_
		.amdhsa_group_segment_fixed_size 0
		.amdhsa_private_segment_fixed_size 0
		.amdhsa_kernarg_size 312
		.amdhsa_user_sgpr_count 6
		.amdhsa_user_sgpr_private_segment_buffer 1
		.amdhsa_user_sgpr_dispatch_ptr 0
		.amdhsa_user_sgpr_queue_ptr 0
		.amdhsa_user_sgpr_kernarg_segment_ptr 1
		.amdhsa_user_sgpr_dispatch_id 0
		.amdhsa_user_sgpr_flat_scratch_init 0
		.amdhsa_user_sgpr_private_segment_size 0
		.amdhsa_wavefront_size32 1
		.amdhsa_uses_dynamic_stack 0
		.amdhsa_system_sgpr_private_segment_wavefront_offset 0
		.amdhsa_system_sgpr_workgroup_id_x 1
		.amdhsa_system_sgpr_workgroup_id_y 1
		.amdhsa_system_sgpr_workgroup_id_z 1
		.amdhsa_system_sgpr_workgroup_info 0
		.amdhsa_system_vgpr_workitem_id 0
		.amdhsa_next_free_vgpr 9
		.amdhsa_next_free_sgpr 23
		.amdhsa_reserve_vcc 1
		.amdhsa_reserve_flat_scratch 0
		.amdhsa_float_round_mode_32 0
		.amdhsa_float_round_mode_16_64 0
		.amdhsa_float_denorm_mode_32 3
		.amdhsa_float_denorm_mode_16_64 3
		.amdhsa_dx10_clamp 1
		.amdhsa_ieee_mode 1
		.amdhsa_fp16_overflow 0
		.amdhsa_workgroup_processor_mode 1
		.amdhsa_memory_ordered 1
		.amdhsa_forward_progress 1
		.amdhsa_shared_vgpr_count 0
		.amdhsa_exception_fp_ieee_invalid_op 0
		.amdhsa_exception_fp_denorm_src 0
		.amdhsa_exception_fp_ieee_div_zero 0
		.amdhsa_exception_fp_ieee_overflow 0
		.amdhsa_exception_fp_ieee_underflow 0
		.amdhsa_exception_fp_ieee_inexact 0
		.amdhsa_exception_int_div_zero 0
	.end_amdhsa_kernel
	.section	.text._ZN9rocsolver6v33100L22bdsqr_update_endpointsIffEEviPT0_lPiS3_lS4_,"axG",@progbits,_ZN9rocsolver6v33100L22bdsqr_update_endpointsIffEEviPT0_lPiS3_lS4_,comdat
.Lfunc_end9:
	.size	_ZN9rocsolver6v33100L22bdsqr_update_endpointsIffEEviPT0_lPiS3_lS4_, .Lfunc_end9-_ZN9rocsolver6v33100L22bdsqr_update_endpointsIffEEviPT0_lPiS3_lS4_
                                        ; -- End function
	.set _ZN9rocsolver6v33100L22bdsqr_update_endpointsIffEEviPT0_lPiS3_lS4_.num_vgpr, 9
	.set _ZN9rocsolver6v33100L22bdsqr_update_endpointsIffEEviPT0_lPiS3_lS4_.num_agpr, 0
	.set _ZN9rocsolver6v33100L22bdsqr_update_endpointsIffEEviPT0_lPiS3_lS4_.numbered_sgpr, 23
	.set _ZN9rocsolver6v33100L22bdsqr_update_endpointsIffEEviPT0_lPiS3_lS4_.num_named_barrier, 0
	.set _ZN9rocsolver6v33100L22bdsqr_update_endpointsIffEEviPT0_lPiS3_lS4_.private_seg_size, 0
	.set _ZN9rocsolver6v33100L22bdsqr_update_endpointsIffEEviPT0_lPiS3_lS4_.uses_vcc, 1
	.set _ZN9rocsolver6v33100L22bdsqr_update_endpointsIffEEviPT0_lPiS3_lS4_.uses_flat_scratch, 0
	.set _ZN9rocsolver6v33100L22bdsqr_update_endpointsIffEEviPT0_lPiS3_lS4_.has_dyn_sized_stack, 0
	.set _ZN9rocsolver6v33100L22bdsqr_update_endpointsIffEEviPT0_lPiS3_lS4_.has_recursion, 0
	.set _ZN9rocsolver6v33100L22bdsqr_update_endpointsIffEEviPT0_lPiS3_lS4_.has_indirect_call, 0
	.section	.AMDGPU.csdata,"",@progbits
; Kernel info:
; codeLenInByte = 936
; TotalNumSgprs: 25
; NumVgprs: 9
; ScratchSize: 0
; MemoryBound: 0
; FloatMode: 240
; IeeeMode: 1
; LDSByteSize: 0 bytes/workgroup (compile time only)
; SGPRBlocks: 0
; VGPRBlocks: 1
; NumSGPRsForWavesPerEU: 25
; NumVGPRsForWavesPerEU: 9
; Occupancy: 16
; WaveLimiterHint : 1
; COMPUTE_PGM_RSRC2:SCRATCH_EN: 0
; COMPUTE_PGM_RSRC2:USER_SGPR: 6
; COMPUTE_PGM_RSRC2:TRAP_HANDLER: 0
; COMPUTE_PGM_RSRC2:TGID_X_EN: 1
; COMPUTE_PGM_RSRC2:TGID_Y_EN: 1
; COMPUTE_PGM_RSRC2:TGID_Z_EN: 1
; COMPUTE_PGM_RSRC2:TIDIG_COMP_CNT: 0
	.section	.text._ZN9rocsolver6v33100L19bdsqr_chk_completedIffEEviiPiPT0_lS2_,"axG",@progbits,_ZN9rocsolver6v33100L19bdsqr_chk_completedIffEEviiPiPT0_lS2_,comdat
	.globl	_ZN9rocsolver6v33100L19bdsqr_chk_completedIffEEviiPiPT0_lS2_ ; -- Begin function _ZN9rocsolver6v33100L19bdsqr_chk_completedIffEEviiPiPT0_lS2_
	.p2align	8
	.type	_ZN9rocsolver6v33100L19bdsqr_chk_completedIffEEviiPiPT0_lS2_,@function
_ZN9rocsolver6v33100L19bdsqr_chk_completedIffEEviiPiPT0_lS2_: ; @_ZN9rocsolver6v33100L19bdsqr_chk_completedIffEEviiPiPT0_lS2_
; %bb.0:
	s_load_dwordx8 s[8:15], s[4:5], 0x8
	s_mov_b32 s6, s7
	s_ashr_i32 s7, s7, 31
	s_lshl_b64 s[0:1], s[6:7], 2
	s_waitcnt lgkmcnt(0)
	s_add_u32 s0, s14, s0
	s_addc_u32 s1, s15, s1
	s_load_dword s2, s[0:1], 0x8
	s_waitcnt lgkmcnt(0)
	s_cmp_lg_u32 s2, 0
	s_cbranch_scc0 .LBB10_2
.LBB10_1:
	s_endpgm
.LBB10_2:
	s_mul_i32 s2, s12, s7
	s_mul_hi_u32 s3, s12, s6
	s_mul_i32 s7, s13, s6
	s_add_i32 s2, s3, s2
	v_mov_b32_e32 v2, 0
	s_add_i32 s3, s2, s7
	s_mul_i32 s2, s12, s6
	s_lshl_b64 s[2:3], s[2:3], 2
	s_add_u32 s10, s10, s2
	s_addc_u32 s11, s11, s3
	s_load_dwordx2 s[12:13], s[10:11], 0x8
	s_load_dword s2, s[14:15], 0x4
	s_waitcnt lgkmcnt(0)
	v_add_f32_e64 v0, s12, s13
	v_cvt_i32_f32_e32 v0, v0
	v_cmp_ge_i32_e32 vcc_lo, s2, v0
	v_cvt_f32_i32_e32 v1, v0
	global_store_dwordx2 v2, v[1:2], s[10:11] offset:8
	s_cbranch_vccnz .LBB10_6
; %bb.3:
	v_mov_b32_e32 v1, s2
	s_mov_b32 s2, 0
.LBB10_4:                               ; =>This Inner Loop Header: Depth=1
	global_atomic_cmpswap v1, v2, v[0:1], s[14:15] offset:4 glc
	s_waitcnt vmcnt(0)
	v_cmp_ge_i32_e32 vcc_lo, v1, v0
	s_or_b32 s2, vcc_lo, s2
	s_andn2_b32 exec_lo, exec_lo, s2
	s_cbranch_execnz .LBB10_4
; %bb.5:
	s_or_b32 exec_lo, exec_lo, s2
.LBB10_6:
	v_cmp_gt_i32_e32 vcc_lo, 1, v0
	s_cbranch_vccnz .LBB10_14
; %bb.7:
	s_load_dwordx2 s[2:3], s[4:5], 0x0
	v_mov_b32_e32 v1, 0
	s_waitcnt lgkmcnt(0)
	s_mul_i32 s2, s6, s2
	s_lshl_b32 s4, s2, 1
	s_ashr_i32 s5, s4, 31
	s_lshl_b64 s[4:5], s[4:5], 2
	s_add_u32 s2, s8, s4
	s_addc_u32 s5, s9, s5
	s_add_u32 s4, s2, 12
	s_addc_u32 s5, s5, 0
	s_branch .LBB10_9
	.p2align	6
.LBB10_8:                               ;   in Loop: Header=BB10_9 Depth=1
	v_add_nc_u32_e32 v0, -1, v0
	s_add_u32 s4, s4, 16
	s_addc_u32 s5, s5, 0
	s_mov_b32 s2, 0
	v_cmp_eq_u32_e64 s6, 0, v0
	s_andn2_b32 vcc_lo, exec_lo, s6
	s_cbranch_vccz .LBB10_13
.LBB10_9:                               ; =>This Inner Loop Header: Depth=1
	global_load_dwordx2 v[2:3], v1, s[4:5] offset:-8
	s_mov_b32 s2, -1
	s_waitcnt vmcnt(0)
	v_cmp_ge_i32_e32 vcc_lo, v2, v3
	s_cbranch_vccnz .LBB10_11
; %bb.10:                               ;   in Loop: Header=BB10_9 Depth=1
	global_load_dword v2, v1, s[4:5]
	s_waitcnt vmcnt(0)
	v_cmp_le_i32_e64 s2, s3, v2
.LBB10_11:                              ;   in Loop: Header=BB10_9 Depth=1
	s_andn2_b32 vcc_lo, exec_lo, s2
	s_cbranch_vccz .LBB10_8
; %bb.12:
	s_mov_b32 s2, -1
                                        ; implicit-def: $vgpr0
                                        ; implicit-def: $sgpr4_sgpr5
.LBB10_13:
	s_xor_b32 s2, s2, -1
	s_and_b32 vcc_lo, exec_lo, s2
	s_cbranch_vccz .LBB10_1
	s_branch .LBB10_15
.LBB10_14:
	s_cbranch_execz .LBB10_1
.LBB10_15:
	s_mov_b32 s2, exec_lo
	v_mov_b32_e32 v0, 0
	v_mbcnt_lo_u32_b32 v1, s2, 0
	v_mov_b32_e32 v2, 1
	global_store_dword v0, v2, s[0:1] offset:8
	s_mov_b32 s0, exec_lo
	v_cmpx_eq_u32_e32 0, v1
	s_cbranch_execz .LBB10_1
; %bb.16:
	s_bcnt1_i32_b32 s0, s2
	v_mov_b32_e32 v1, s0
	global_atomic_add v0, v1, s[14:15]
	s_endpgm
	.section	.rodata,"a",@progbits
	.p2align	6, 0x0
	.amdhsa_kernel _ZN9rocsolver6v33100L19bdsqr_chk_completedIffEEviiPiPT0_lS2_
		.amdhsa_group_segment_fixed_size 0
		.amdhsa_private_segment_fixed_size 0
		.amdhsa_kernarg_size 40
		.amdhsa_user_sgpr_count 6
		.amdhsa_user_sgpr_private_segment_buffer 1
		.amdhsa_user_sgpr_dispatch_ptr 0
		.amdhsa_user_sgpr_queue_ptr 0
		.amdhsa_user_sgpr_kernarg_segment_ptr 1
		.amdhsa_user_sgpr_dispatch_id 0
		.amdhsa_user_sgpr_flat_scratch_init 0
		.amdhsa_user_sgpr_private_segment_size 0
		.amdhsa_wavefront_size32 1
		.amdhsa_uses_dynamic_stack 0
		.amdhsa_system_sgpr_private_segment_wavefront_offset 0
		.amdhsa_system_sgpr_workgroup_id_x 1
		.amdhsa_system_sgpr_workgroup_id_y 1
		.amdhsa_system_sgpr_workgroup_id_z 0
		.amdhsa_system_sgpr_workgroup_info 0
		.amdhsa_system_vgpr_workitem_id 0
		.amdhsa_next_free_vgpr 4
		.amdhsa_next_free_sgpr 16
		.amdhsa_reserve_vcc 1
		.amdhsa_reserve_flat_scratch 0
		.amdhsa_float_round_mode_32 0
		.amdhsa_float_round_mode_16_64 0
		.amdhsa_float_denorm_mode_32 3
		.amdhsa_float_denorm_mode_16_64 3
		.amdhsa_dx10_clamp 1
		.amdhsa_ieee_mode 1
		.amdhsa_fp16_overflow 0
		.amdhsa_workgroup_processor_mode 1
		.amdhsa_memory_ordered 1
		.amdhsa_forward_progress 1
		.amdhsa_shared_vgpr_count 0
		.amdhsa_exception_fp_ieee_invalid_op 0
		.amdhsa_exception_fp_denorm_src 0
		.amdhsa_exception_fp_ieee_div_zero 0
		.amdhsa_exception_fp_ieee_overflow 0
		.amdhsa_exception_fp_ieee_underflow 0
		.amdhsa_exception_fp_ieee_inexact 0
		.amdhsa_exception_int_div_zero 0
	.end_amdhsa_kernel
	.section	.text._ZN9rocsolver6v33100L19bdsqr_chk_completedIffEEviiPiPT0_lS2_,"axG",@progbits,_ZN9rocsolver6v33100L19bdsqr_chk_completedIffEEviiPiPT0_lS2_,comdat
.Lfunc_end10:
	.size	_ZN9rocsolver6v33100L19bdsqr_chk_completedIffEEviiPiPT0_lS2_, .Lfunc_end10-_ZN9rocsolver6v33100L19bdsqr_chk_completedIffEEviiPiPT0_lS2_
                                        ; -- End function
	.set _ZN9rocsolver6v33100L19bdsqr_chk_completedIffEEviiPiPT0_lS2_.num_vgpr, 4
	.set _ZN9rocsolver6v33100L19bdsqr_chk_completedIffEEviiPiPT0_lS2_.num_agpr, 0
	.set _ZN9rocsolver6v33100L19bdsqr_chk_completedIffEEviiPiPT0_lS2_.numbered_sgpr, 16
	.set _ZN9rocsolver6v33100L19bdsqr_chk_completedIffEEviiPiPT0_lS2_.num_named_barrier, 0
	.set _ZN9rocsolver6v33100L19bdsqr_chk_completedIffEEviiPiPT0_lS2_.private_seg_size, 0
	.set _ZN9rocsolver6v33100L19bdsqr_chk_completedIffEEviiPiPT0_lS2_.uses_vcc, 1
	.set _ZN9rocsolver6v33100L19bdsqr_chk_completedIffEEviiPiPT0_lS2_.uses_flat_scratch, 0
	.set _ZN9rocsolver6v33100L19bdsqr_chk_completedIffEEviiPiPT0_lS2_.has_dyn_sized_stack, 0
	.set _ZN9rocsolver6v33100L19bdsqr_chk_completedIffEEviiPiPT0_lS2_.has_recursion, 0
	.set _ZN9rocsolver6v33100L19bdsqr_chk_completedIffEEviiPiPT0_lS2_.has_indirect_call, 0
	.section	.AMDGPU.csdata,"",@progbits
; Kernel info:
; codeLenInByte = 424
; TotalNumSgprs: 18
; NumVgprs: 4
; ScratchSize: 0
; MemoryBound: 0
; FloatMode: 240
; IeeeMode: 1
; LDSByteSize: 0 bytes/workgroup (compile time only)
; SGPRBlocks: 0
; VGPRBlocks: 0
; NumSGPRsForWavesPerEU: 18
; NumVGPRsForWavesPerEU: 4
; Occupancy: 16
; WaveLimiterHint : 0
; COMPUTE_PGM_RSRC2:SCRATCH_EN: 0
; COMPUTE_PGM_RSRC2:USER_SGPR: 6
; COMPUTE_PGM_RSRC2:TRAP_HANDLER: 0
; COMPUTE_PGM_RSRC2:TGID_X_EN: 1
; COMPUTE_PGM_RSRC2:TGID_Y_EN: 1
; COMPUTE_PGM_RSRC2:TGID_Z_EN: 0
; COMPUTE_PGM_RSRC2:TIDIG_COMP_CNT: 0
	.text
	.p2align	2                               ; -- Begin function __ockl_fprintf_append_string_n
	.type	__ockl_fprintf_append_string_n,@function
__ockl_fprintf_append_string_n:         ; @__ockl_fprintf_append_string_n
; %bb.0:
	s_waitcnt vmcnt(0) expcnt(0) lgkmcnt(0)
	v_or_b32_e32 v2, 2, v0
	v_cmp_eq_u32_e32 vcc_lo, 0, v6
	v_mbcnt_lo_u32_b32 v35, -1, 0
	s_getpc_b64 s[4:5]
	s_add_u32 s4, s4, .str.5@rel32@lo+4
	s_addc_u32 s5, s5, .str.5@rel32@hi+12
	s_mov_b32 s14, 0
	s_cmp_lg_u64 s[4:5], 0
	v_cndmask_b32_e32 v34, v2, v0, vcc_lo
	s_cbranch_scc0 .LBB11_113
; %bb.1:
	s_load_dwordx2 s[6:7], s[8:9], 0x50
	v_and_b32_e32 v0, -3, v34
	s_getpc_b64 s[4:5]
	s_add_u32 s4, s4, .str.5@rel32@lo+4
	s_addc_u32 s5, s5, .str.5@rel32@hi+12
	v_mov_b32_e32 v11, v1
	v_mov_b32_e32 v2, s4
	v_and_b32_e32 v36, 2, v34
	v_mov_b32_e32 v7, 0
	v_mov_b32_e32 v3, s5
	;; [unrolled: 1-line block ×5, first 2 shown]
	s_mov_b32 s15, 0
	s_branch .LBB11_3
.LBB11_2:                               ;   in Loop: Header=BB11_3 Depth=1
	s_or_b32 exec_lo, exec_lo, s12
	v_sub_co_u32 v4, vcc_lo, v4, v30
	v_sub_co_ci_u32_e64 v5, null, v5, v31, vcc_lo
	v_add_co_u32 v2, s4, v2, v30
	v_add_co_ci_u32_e64 v3, null, v3, v31, s4
	v_cmp_eq_u64_e32 vcc_lo, 0, v[4:5]
	s_or_b32 s15, vcc_lo, s15
	s_andn2_b32 exec_lo, exec_lo, s15
	s_cbranch_execz .LBB11_85
.LBB11_3:                               ; =>This Loop Header: Depth=1
                                        ;     Child Loop BB11_6 Depth 2
                                        ;     Child Loop BB11_14 Depth 2
	;; [unrolled: 1-line block ×11, first 2 shown]
	v_cmp_gt_u64_e32 vcc_lo, 56, v[4:5]
	s_mov_b32 s5, exec_lo
	v_cndmask_b32_e32 v31, 0, v5, vcc_lo
	v_cndmask_b32_e32 v30, 56, v4, vcc_lo
	v_add_co_u32 v16, vcc_lo, v2, 8
	v_add_co_ci_u32_e64 v17, null, 0, v3, vcc_lo
	v_cmpx_gt_u64_e32 8, v[4:5]
	s_xor_b32 s5, exec_lo, s5
	s_cbranch_execz .LBB11_9
; %bb.4:                                ;   in Loop: Header=BB11_3 Depth=1
	s_waitcnt vmcnt(0)
	v_mov_b32_e32 v12, 0
	v_mov_b32_e32 v13, 0
	s_mov_b32 s12, exec_lo
	v_cmpx_ne_u64_e32 0, v[4:5]
	s_cbranch_execz .LBB11_8
; %bb.5:                                ;   in Loop: Header=BB11_3 Depth=1
	v_lshlrev_b64 v[14:15], 3, v[30:31]
	v_mov_b32_e32 v12, 0
	v_mov_b32_e32 v16, v3
	;; [unrolled: 1-line block ×4, first 2 shown]
	s_mov_b64 s[10:11], 0
	s_mov_b32 s13, 0
	.p2align	6
.LBB11_6:                               ;   Parent Loop BB11_3 Depth=1
                                        ; =>  This Inner Loop Header: Depth=2
	global_load_ubyte v0, v[15:16], off
	v_mov_b32_e32 v18, s14
	v_add_co_u32 v15, vcc_lo, v15, 1
	v_add_co_ci_u32_e64 v16, null, 0, v16, vcc_lo
	s_waitcnt vmcnt(0)
	v_and_b32_e32 v17, 0xffff, v0
	v_lshlrev_b64 v[17:18], s10, v[17:18]
	s_add_u32 s10, s10, 8
	s_addc_u32 s11, s11, 0
	v_cmp_eq_u32_e64 s4, s10, v14
	v_or_b32_e32 v13, v18, v13
	v_or_b32_e32 v12, v17, v12
	s_or_b32 s13, s4, s13
	s_andn2_b32 exec_lo, exec_lo, s13
	s_cbranch_execnz .LBB11_6
; %bb.7:                                ;   in Loop: Header=BB11_3 Depth=1
	s_or_b32 exec_lo, exec_lo, s13
.LBB11_8:                               ;   in Loop: Header=BB11_3 Depth=1
	s_or_b32 exec_lo, exec_lo, s12
	v_mov_b32_e32 v17, v3
	v_mov_b32_e32 v16, v2
.LBB11_9:                               ;   in Loop: Header=BB11_3 Depth=1
	s_or_saveexec_b32 s4, s5
	v_mov_b32_e32 v0, 0
	s_xor_b32 exec_lo, exec_lo, s4
	s_cbranch_execz .LBB11_11
; %bb.10:                               ;   in Loop: Header=BB11_3 Depth=1
	global_load_dwordx2 v[12:13], v[2:3], off
	v_add_nc_u32_e32 v0, -8, v30
.LBB11_11:                              ;   in Loop: Header=BB11_3 Depth=1
	s_or_b32 exec_lo, exec_lo, s4
	v_add_co_u32 v18, s4, v16, 8
	v_add_co_ci_u32_e64 v19, null, 0, v17, s4
                                        ; implicit-def: $vgpr14_vgpr15
	s_mov_b32 s4, exec_lo
	v_cmpx_gt_u32_e32 8, v0
	s_xor_b32 s12, exec_lo, s4
	s_cbranch_execz .LBB11_17
; %bb.12:                               ;   in Loop: Header=BB11_3 Depth=1
	v_mov_b32_e32 v14, 0
	v_mov_b32_e32 v15, 0
	s_mov_b32 s13, exec_lo
	v_cmpx_ne_u32_e32 0, v0
	s_cbranch_execz .LBB11_16
; %bb.13:                               ;   in Loop: Header=BB11_3 Depth=1
	v_mov_b32_e32 v14, 0
	v_mov_b32_e32 v15, 0
	s_mov_b64 s[4:5], 0
	s_mov_b32 s16, 0
	s_mov_b64 s[10:11], 0
	.p2align	6
.LBB11_14:                              ;   Parent Loop BB11_3 Depth=1
                                        ; =>  This Inner Loop Header: Depth=2
	v_add_co_u32 v18, vcc_lo, v16, s10
	v_add_co_ci_u32_e64 v19, null, s11, v17, vcc_lo
	s_add_u32 s10, s10, 1
	s_addc_u32 s11, s11, 0
	v_cmp_eq_u32_e32 vcc_lo, s10, v0
	global_load_ubyte v6, v[18:19], off
	v_mov_b32_e32 v19, s14
	s_waitcnt vmcnt(0)
	v_and_b32_e32 v18, 0xffff, v6
	v_lshlrev_b64 v[18:19], s4, v[18:19]
	s_add_u32 s4, s4, 8
	s_addc_u32 s5, s5, 0
	s_or_b32 s16, vcc_lo, s16
	v_or_b32_e32 v15, v19, v15
	v_or_b32_e32 v14, v18, v14
	s_andn2_b32 exec_lo, exec_lo, s16
	s_cbranch_execnz .LBB11_14
; %bb.15:                               ;   in Loop: Header=BB11_3 Depth=1
	s_or_b32 exec_lo, exec_lo, s16
.LBB11_16:                              ;   in Loop: Header=BB11_3 Depth=1
	s_or_b32 exec_lo, exec_lo, s13
	v_mov_b32_e32 v19, v17
	v_mov_b32_e32 v18, v16
                                        ; implicit-def: $vgpr0
.LBB11_17:                              ;   in Loop: Header=BB11_3 Depth=1
	s_or_saveexec_b32 s4, s12
	v_mov_b32_e32 v6, 0
	s_xor_b32 exec_lo, exec_lo, s4
	s_cbranch_execz .LBB11_19
; %bb.18:                               ;   in Loop: Header=BB11_3 Depth=1
	global_load_dwordx2 v[14:15], v[16:17], off
	v_add_nc_u32_e32 v6, -8, v0
.LBB11_19:                              ;   in Loop: Header=BB11_3 Depth=1
	s_or_b32 exec_lo, exec_lo, s4
	v_add_co_u32 v20, s4, v18, 8
	v_add_co_ci_u32_e64 v21, null, 0, v19, s4
	s_mov_b32 s4, exec_lo
	v_cmpx_gt_u32_e32 8, v6
	s_xor_b32 s12, exec_lo, s4
	s_cbranch_execz .LBB11_25
; %bb.20:                               ;   in Loop: Header=BB11_3 Depth=1
	v_mov_b32_e32 v16, 0
	v_mov_b32_e32 v17, 0
	s_mov_b32 s13, exec_lo
	v_cmpx_ne_u32_e32 0, v6
	s_cbranch_execz .LBB11_24
; %bb.21:                               ;   in Loop: Header=BB11_3 Depth=1
	v_mov_b32_e32 v16, 0
	v_mov_b32_e32 v17, 0
	s_mov_b64 s[4:5], 0
	s_mov_b32 s16, 0
	s_mov_b64 s[10:11], 0
	.p2align	6
.LBB11_22:                              ;   Parent Loop BB11_3 Depth=1
                                        ; =>  This Inner Loop Header: Depth=2
	v_add_co_u32 v20, vcc_lo, v18, s10
	v_add_co_ci_u32_e64 v21, null, s11, v19, vcc_lo
	s_add_u32 s10, s10, 1
	s_addc_u32 s11, s11, 0
	v_cmp_eq_u32_e32 vcc_lo, s10, v6
	global_load_ubyte v0, v[20:21], off
	v_mov_b32_e32 v21, s14
	s_waitcnt vmcnt(0)
	v_and_b32_e32 v20, 0xffff, v0
	v_lshlrev_b64 v[20:21], s4, v[20:21]
	s_add_u32 s4, s4, 8
	s_addc_u32 s5, s5, 0
	s_or_b32 s16, vcc_lo, s16
	v_or_b32_e32 v17, v21, v17
	v_or_b32_e32 v16, v20, v16
	s_andn2_b32 exec_lo, exec_lo, s16
	s_cbranch_execnz .LBB11_22
; %bb.23:                               ;   in Loop: Header=BB11_3 Depth=1
	s_or_b32 exec_lo, exec_lo, s16
.LBB11_24:                              ;   in Loop: Header=BB11_3 Depth=1
	s_or_b32 exec_lo, exec_lo, s13
	v_mov_b32_e32 v21, v19
	v_mov_b32_e32 v20, v18
                                        ; implicit-def: $vgpr6
.LBB11_25:                              ;   in Loop: Header=BB11_3 Depth=1
	s_or_saveexec_b32 s4, s12
	v_mov_b32_e32 v0, 0
	s_xor_b32 exec_lo, exec_lo, s4
	s_cbranch_execz .LBB11_27
; %bb.26:                               ;   in Loop: Header=BB11_3 Depth=1
	global_load_dwordx2 v[16:17], v[18:19], off
	v_add_nc_u32_e32 v0, -8, v6
.LBB11_27:                              ;   in Loop: Header=BB11_3 Depth=1
	s_or_b32 exec_lo, exec_lo, s4
	v_add_co_u32 v22, s4, v20, 8
	v_add_co_ci_u32_e64 v23, null, 0, v21, s4
                                        ; implicit-def: $vgpr18_vgpr19
	s_mov_b32 s4, exec_lo
	v_cmpx_gt_u32_e32 8, v0
	s_xor_b32 s12, exec_lo, s4
	s_cbranch_execz .LBB11_33
; %bb.28:                               ;   in Loop: Header=BB11_3 Depth=1
	v_mov_b32_e32 v18, 0
	v_mov_b32_e32 v19, 0
	s_mov_b32 s13, exec_lo
	v_cmpx_ne_u32_e32 0, v0
	s_cbranch_execz .LBB11_32
; %bb.29:                               ;   in Loop: Header=BB11_3 Depth=1
	v_mov_b32_e32 v18, 0
	v_mov_b32_e32 v19, 0
	s_mov_b64 s[4:5], 0
	s_mov_b32 s16, 0
	s_mov_b64 s[10:11], 0
	.p2align	6
.LBB11_30:                              ;   Parent Loop BB11_3 Depth=1
                                        ; =>  This Inner Loop Header: Depth=2
	v_add_co_u32 v22, vcc_lo, v20, s10
	v_add_co_ci_u32_e64 v23, null, s11, v21, vcc_lo
	s_add_u32 s10, s10, 1
	s_addc_u32 s11, s11, 0
	v_cmp_eq_u32_e32 vcc_lo, s10, v0
	global_load_ubyte v6, v[22:23], off
	v_mov_b32_e32 v23, s14
	s_waitcnt vmcnt(0)
	v_and_b32_e32 v22, 0xffff, v6
	v_lshlrev_b64 v[22:23], s4, v[22:23]
	s_add_u32 s4, s4, 8
	s_addc_u32 s5, s5, 0
	s_or_b32 s16, vcc_lo, s16
	v_or_b32_e32 v19, v23, v19
	v_or_b32_e32 v18, v22, v18
	s_andn2_b32 exec_lo, exec_lo, s16
	s_cbranch_execnz .LBB11_30
; %bb.31:                               ;   in Loop: Header=BB11_3 Depth=1
	s_or_b32 exec_lo, exec_lo, s16
.LBB11_32:                              ;   in Loop: Header=BB11_3 Depth=1
	s_or_b32 exec_lo, exec_lo, s13
	v_mov_b32_e32 v23, v21
	v_mov_b32_e32 v22, v20
                                        ; implicit-def: $vgpr0
.LBB11_33:                              ;   in Loop: Header=BB11_3 Depth=1
	s_or_saveexec_b32 s4, s12
	v_mov_b32_e32 v6, 0
	s_xor_b32 exec_lo, exec_lo, s4
	s_cbranch_execz .LBB11_35
; %bb.34:                               ;   in Loop: Header=BB11_3 Depth=1
	global_load_dwordx2 v[18:19], v[20:21], off
	v_add_nc_u32_e32 v6, -8, v0
.LBB11_35:                              ;   in Loop: Header=BB11_3 Depth=1
	s_or_b32 exec_lo, exec_lo, s4
	v_add_co_u32 v24, s4, v22, 8
	v_add_co_ci_u32_e64 v25, null, 0, v23, s4
	s_mov_b32 s4, exec_lo
	v_cmpx_gt_u32_e32 8, v6
	s_xor_b32 s12, exec_lo, s4
	s_cbranch_execz .LBB11_41
; %bb.36:                               ;   in Loop: Header=BB11_3 Depth=1
	v_mov_b32_e32 v20, 0
	v_mov_b32_e32 v21, 0
	s_mov_b32 s13, exec_lo
	v_cmpx_ne_u32_e32 0, v6
	s_cbranch_execz .LBB11_40
; %bb.37:                               ;   in Loop: Header=BB11_3 Depth=1
	v_mov_b32_e32 v20, 0
	v_mov_b32_e32 v21, 0
	s_mov_b64 s[4:5], 0
	s_mov_b32 s16, 0
	s_mov_b64 s[10:11], 0
	.p2align	6
.LBB11_38:                              ;   Parent Loop BB11_3 Depth=1
                                        ; =>  This Inner Loop Header: Depth=2
	v_add_co_u32 v24, vcc_lo, v22, s10
	v_add_co_ci_u32_e64 v25, null, s11, v23, vcc_lo
	s_add_u32 s10, s10, 1
	s_addc_u32 s11, s11, 0
	v_cmp_eq_u32_e32 vcc_lo, s10, v6
	global_load_ubyte v0, v[24:25], off
	v_mov_b32_e32 v25, s14
	s_waitcnt vmcnt(0)
	v_and_b32_e32 v24, 0xffff, v0
	v_lshlrev_b64 v[24:25], s4, v[24:25]
	s_add_u32 s4, s4, 8
	s_addc_u32 s5, s5, 0
	s_or_b32 s16, vcc_lo, s16
	v_or_b32_e32 v21, v25, v21
	v_or_b32_e32 v20, v24, v20
	s_andn2_b32 exec_lo, exec_lo, s16
	s_cbranch_execnz .LBB11_38
; %bb.39:                               ;   in Loop: Header=BB11_3 Depth=1
	s_or_b32 exec_lo, exec_lo, s16
.LBB11_40:                              ;   in Loop: Header=BB11_3 Depth=1
	s_or_b32 exec_lo, exec_lo, s13
	v_mov_b32_e32 v25, v23
	v_mov_b32_e32 v24, v22
                                        ; implicit-def: $vgpr6
.LBB11_41:                              ;   in Loop: Header=BB11_3 Depth=1
	s_or_saveexec_b32 s4, s12
	v_mov_b32_e32 v0, 0
	s_xor_b32 exec_lo, exec_lo, s4
	s_cbranch_execz .LBB11_43
; %bb.42:                               ;   in Loop: Header=BB11_3 Depth=1
	global_load_dwordx2 v[20:21], v[22:23], off
	v_add_nc_u32_e32 v0, -8, v6
.LBB11_43:                              ;   in Loop: Header=BB11_3 Depth=1
	s_or_b32 exec_lo, exec_lo, s4
	v_add_co_u32 v26, s4, v24, 8
	v_add_co_ci_u32_e64 v27, null, 0, v25, s4
                                        ; implicit-def: $vgpr22_vgpr23
	s_mov_b32 s4, exec_lo
	v_cmpx_gt_u32_e32 8, v0
	s_xor_b32 s12, exec_lo, s4
	s_cbranch_execz .LBB11_49
; %bb.44:                               ;   in Loop: Header=BB11_3 Depth=1
	v_mov_b32_e32 v22, 0
	v_mov_b32_e32 v23, 0
	s_mov_b32 s13, exec_lo
	v_cmpx_ne_u32_e32 0, v0
	s_cbranch_execz .LBB11_48
; %bb.45:                               ;   in Loop: Header=BB11_3 Depth=1
	v_mov_b32_e32 v22, 0
	v_mov_b32_e32 v23, 0
	s_mov_b64 s[4:5], 0
	s_mov_b32 s16, 0
	s_mov_b64 s[10:11], 0
	.p2align	6
.LBB11_46:                              ;   Parent Loop BB11_3 Depth=1
                                        ; =>  This Inner Loop Header: Depth=2
	v_add_co_u32 v26, vcc_lo, v24, s10
	v_add_co_ci_u32_e64 v27, null, s11, v25, vcc_lo
	s_add_u32 s10, s10, 1
	s_addc_u32 s11, s11, 0
	v_cmp_eq_u32_e32 vcc_lo, s10, v0
	global_load_ubyte v6, v[26:27], off
	v_mov_b32_e32 v27, s14
	s_waitcnt vmcnt(0)
	v_and_b32_e32 v26, 0xffff, v6
	v_lshlrev_b64 v[26:27], s4, v[26:27]
	s_add_u32 s4, s4, 8
	s_addc_u32 s5, s5, 0
	s_or_b32 s16, vcc_lo, s16
	v_or_b32_e32 v23, v27, v23
	v_or_b32_e32 v22, v26, v22
	s_andn2_b32 exec_lo, exec_lo, s16
	s_cbranch_execnz .LBB11_46
; %bb.47:                               ;   in Loop: Header=BB11_3 Depth=1
	s_or_b32 exec_lo, exec_lo, s16
.LBB11_48:                              ;   in Loop: Header=BB11_3 Depth=1
	s_or_b32 exec_lo, exec_lo, s13
	v_mov_b32_e32 v27, v25
	v_mov_b32_e32 v26, v24
                                        ; implicit-def: $vgpr0
.LBB11_49:                              ;   in Loop: Header=BB11_3 Depth=1
	s_or_saveexec_b32 s4, s12
	v_mov_b32_e32 v6, 0
	s_xor_b32 exec_lo, exec_lo, s4
	s_cbranch_execz .LBB11_51
; %bb.50:                               ;   in Loop: Header=BB11_3 Depth=1
	global_load_dwordx2 v[22:23], v[24:25], off
	v_add_nc_u32_e32 v6, -8, v0
.LBB11_51:                              ;   in Loop: Header=BB11_3 Depth=1
	s_or_b32 exec_lo, exec_lo, s4
	s_mov_b32 s4, exec_lo
	v_cmpx_gt_u32_e32 8, v6
	s_xor_b32 s10, exec_lo, s4
	s_cbranch_execz .LBB11_57
; %bb.52:                               ;   in Loop: Header=BB11_3 Depth=1
	v_mov_b32_e32 v24, 0
	v_mov_b32_e32 v25, 0
	s_mov_b32 s11, exec_lo
	v_cmpx_ne_u32_e32 0, v6
	s_cbranch_execz .LBB11_56
; %bb.53:                               ;   in Loop: Header=BB11_3 Depth=1
	v_mov_b32_e32 v24, 0
	v_mov_b32_e32 v25, 0
	s_mov_b64 s[4:5], 0
	s_mov_b32 s12, 0
	.p2align	6
.LBB11_54:                              ;   Parent Loop BB11_3 Depth=1
                                        ; =>  This Inner Loop Header: Depth=2
	global_load_ubyte v0, v[26:27], off
	v_mov_b32_e32 v29, s14
	v_add_nc_u32_e32 v6, -1, v6
	v_add_co_u32 v26, vcc_lo, v26, 1
	v_add_co_ci_u32_e64 v27, null, 0, v27, vcc_lo
	v_cmp_eq_u32_e32 vcc_lo, 0, v6
	s_waitcnt vmcnt(0)
	v_and_b32_e32 v28, 0xffff, v0
	v_lshlrev_b64 v[28:29], s4, v[28:29]
	s_add_u32 s4, s4, 8
	s_addc_u32 s5, s5, 0
	s_or_b32 s12, vcc_lo, s12
	v_or_b32_e32 v25, v29, v25
	v_or_b32_e32 v24, v28, v24
	s_andn2_b32 exec_lo, exec_lo, s12
	s_cbranch_execnz .LBB11_54
; %bb.55:                               ;   in Loop: Header=BB11_3 Depth=1
	s_or_b32 exec_lo, exec_lo, s12
.LBB11_56:                              ;   in Loop: Header=BB11_3 Depth=1
	s_or_b32 exec_lo, exec_lo, s11
                                        ; implicit-def: $vgpr26_vgpr27
.LBB11_57:                              ;   in Loop: Header=BB11_3 Depth=1
	s_andn2_saveexec_b32 s4, s10
	s_cbranch_execz .LBB11_59
; %bb.58:                               ;   in Loop: Header=BB11_3 Depth=1
	global_load_dwordx2 v[24:25], v[26:27], off
.LBB11_59:                              ;   in Loop: Header=BB11_3 Depth=1
	s_or_b32 exec_lo, exec_lo, s4
	v_readfirstlane_b32 s4, v35
	v_mov_b32_e32 v32, 0
	v_mov_b32_e32 v33, 0
	v_cmp_eq_u32_e64 s4, s4, v35
	s_and_saveexec_b32 s5, s4
	s_cbranch_execz .LBB11_65
; %bb.60:                               ;   in Loop: Header=BB11_3 Depth=1
	s_waitcnt lgkmcnt(0)
	global_load_dwordx2 v[28:29], v7, s[6:7] offset:24 glc dlc
	s_waitcnt vmcnt(0)
	buffer_gl1_inv
	buffer_gl0_inv
	s_clause 0x1
	global_load_dwordx2 v[26:27], v7, s[6:7] offset:40
	global_load_dwordx2 v[32:33], v7, s[6:7]
	s_mov_b32 s10, exec_lo
	s_waitcnt vmcnt(1)
	v_and_b32_e32 v0, v27, v29
	v_and_b32_e32 v6, v26, v28
	v_mul_lo_u32 v0, v0, 24
	v_mul_hi_u32 v26, v6, 24
	v_mul_lo_u32 v6, v6, 24
	v_add_nc_u32_e32 v0, v26, v0
	s_waitcnt vmcnt(0)
	v_add_co_u32 v26, vcc_lo, v32, v6
	v_add_co_ci_u32_e64 v27, null, v33, v0, vcc_lo
	global_load_dwordx2 v[26:27], v[26:27], off glc dlc
	s_waitcnt vmcnt(0)
	global_atomic_cmpswap_x2 v[32:33], v7, v[26:29], s[6:7] offset:24 glc
	s_waitcnt vmcnt(0)
	buffer_gl1_inv
	buffer_gl0_inv
	v_cmpx_ne_u64_e64 v[32:33], v[28:29]
	s_cbranch_execz .LBB11_64
; %bb.61:                               ;   in Loop: Header=BB11_3 Depth=1
	s_mov_b32 s11, 0
	.p2align	6
.LBB11_62:                              ;   Parent Loop BB11_3 Depth=1
                                        ; =>  This Inner Loop Header: Depth=2
	s_sleep 1
	s_clause 0x1
	global_load_dwordx2 v[26:27], v7, s[6:7] offset:40
	global_load_dwordx2 v[37:38], v7, s[6:7]
	v_mov_b32_e32 v28, v32
	v_mov_b32_e32 v29, v33
	s_waitcnt vmcnt(1)
	v_and_b32_e32 v0, v26, v28
	v_and_b32_e32 v6, v27, v29
	s_waitcnt vmcnt(0)
	v_mad_u64_u32 v[32:33], null, v0, 24, v[37:38]
	v_mov_b32_e32 v0, v33
	v_mad_u64_u32 v[26:27], null, v6, 24, v[0:1]
	v_mov_b32_e32 v33, v26
	global_load_dwordx2 v[26:27], v[32:33], off glc dlc
	s_waitcnt vmcnt(0)
	global_atomic_cmpswap_x2 v[32:33], v7, v[26:29], s[6:7] offset:24 glc
	s_waitcnt vmcnt(0)
	buffer_gl1_inv
	buffer_gl0_inv
	v_cmp_eq_u64_e32 vcc_lo, v[32:33], v[28:29]
	s_or_b32 s11, vcc_lo, s11
	s_andn2_b32 exec_lo, exec_lo, s11
	s_cbranch_execnz .LBB11_62
; %bb.63:                               ;   in Loop: Header=BB11_3 Depth=1
	s_or_b32 exec_lo, exec_lo, s11
.LBB11_64:                              ;   in Loop: Header=BB11_3 Depth=1
	s_or_b32 exec_lo, exec_lo, s10
.LBB11_65:                              ;   in Loop: Header=BB11_3 Depth=1
	s_or_b32 exec_lo, exec_lo, s5
	s_waitcnt lgkmcnt(0)
	s_clause 0x1
	global_load_dwordx2 v[37:38], v7, s[6:7] offset:40
	global_load_dwordx4 v[26:29], v7, s[6:7]
	v_readfirstlane_b32 s11, v33
	v_readfirstlane_b32 s10, v32
	s_mov_b32 s5, exec_lo
	s_waitcnt vmcnt(1)
	v_readfirstlane_b32 s12, v37
	v_readfirstlane_b32 s13, v38
	s_and_b64 s[12:13], s[12:13], s[10:11]
	s_mul_i32 s16, s13, 24
	s_mul_hi_u32 s17, s12, 24
	s_mul_i32 s18, s12, 24
	s_add_i32 s17, s17, s16
	s_waitcnt vmcnt(0)
	v_add_co_u32 v32, vcc_lo, v26, s18
	v_add_co_ci_u32_e64 v33, null, s17, v27, vcc_lo
	s_and_saveexec_b32 s16, s4
	s_cbranch_execz .LBB11_67
; %bb.66:                               ;   in Loop: Header=BB11_3 Depth=1
	v_mov_b32_e32 v6, s5
	global_store_dwordx4 v[32:33], v[6:9], off offset:8
.LBB11_67:                              ;   in Loop: Header=BB11_3 Depth=1
	s_or_b32 exec_lo, exec_lo, s16
	v_cmp_gt_u64_e32 vcc_lo, 57, v[4:5]
	s_lshl_b64 s[12:13], s[12:13], 12
	v_and_b32_e32 v10, 0xffffff1f, v10
	v_lshl_add_u32 v37, v30, 2, 28
	v_cndmask_b32_e32 v6, 0, v36, vcc_lo
	v_add_co_u32 v0, vcc_lo, v28, s12
	v_add_co_ci_u32_e64 v28, null, s13, v29, vcc_lo
	v_or_b32_e32 v6, v10, v6
	v_lshlrev_b32_e32 v29, 6, v35
	v_readfirstlane_b32 s12, v0
	v_readfirstlane_b32 s13, v28
	v_and_or_b32 v10, 0x1e0, v37, v6
	global_store_dwordx4 v29, v[14:17], s[12:13] offset:16
	global_store_dwordx4 v29, v[10:13], s[12:13]
	global_store_dwordx4 v29, v[18:21], s[12:13] offset:32
	global_store_dwordx4 v29, v[22:25], s[12:13] offset:48
	s_and_saveexec_b32 s5, s4
	s_cbranch_execz .LBB11_75
; %bb.68:                               ;   in Loop: Header=BB11_3 Depth=1
	s_clause 0x1
	global_load_dwordx2 v[18:19], v7, s[6:7] offset:32 glc dlc
	global_load_dwordx2 v[10:11], v7, s[6:7] offset:40
	v_mov_b32_e32 v16, s10
	v_mov_b32_e32 v17, s11
	s_waitcnt vmcnt(0)
	v_readfirstlane_b32 s12, v10
	v_readfirstlane_b32 s13, v11
	s_and_b64 s[12:13], s[12:13], s[10:11]
	s_mul_i32 s13, s13, 24
	s_mul_hi_u32 s16, s12, 24
	s_mul_i32 s12, s12, 24
	s_add_i32 s16, s16, s13
	v_add_co_u32 v14, vcc_lo, v26, s12
	v_add_co_ci_u32_e64 v15, null, s16, v27, vcc_lo
	s_mov_b32 s12, exec_lo
	global_store_dwordx2 v[14:15], v[18:19], off
	s_waitcnt_vscnt null, 0x0
	global_atomic_cmpswap_x2 v[12:13], v7, v[16:19], s[6:7] offset:32 glc
	s_waitcnt vmcnt(0)
	v_cmpx_ne_u64_e64 v[12:13], v[18:19]
	s_cbranch_execz .LBB11_71
; %bb.69:                               ;   in Loop: Header=BB11_3 Depth=1
	s_mov_b32 s13, 0
.LBB11_70:                              ;   Parent Loop BB11_3 Depth=1
                                        ; =>  This Inner Loop Header: Depth=2
	v_mov_b32_e32 v10, s10
	v_mov_b32_e32 v11, s11
	s_sleep 1
	global_store_dwordx2 v[14:15], v[12:13], off
	s_waitcnt_vscnt null, 0x0
	global_atomic_cmpswap_x2 v[10:11], v7, v[10:13], s[6:7] offset:32 glc
	s_waitcnt vmcnt(0)
	v_cmp_eq_u64_e32 vcc_lo, v[10:11], v[12:13]
	v_mov_b32_e32 v13, v11
	v_mov_b32_e32 v12, v10
	s_or_b32 s13, vcc_lo, s13
	s_andn2_b32 exec_lo, exec_lo, s13
	s_cbranch_execnz .LBB11_70
.LBB11_71:                              ;   in Loop: Header=BB11_3 Depth=1
	s_or_b32 exec_lo, exec_lo, s12
	global_load_dwordx2 v[10:11], v7, s[6:7] offset:16
	s_mov_b32 s13, exec_lo
	s_mov_b32 s12, exec_lo
	v_mbcnt_lo_u32_b32 v6, s13, 0
	v_cmpx_eq_u32_e32 0, v6
	s_cbranch_execz .LBB11_73
; %bb.72:                               ;   in Loop: Header=BB11_3 Depth=1
	s_bcnt1_i32_b32 s13, s13
	v_mov_b32_e32 v6, s13
	s_waitcnt vmcnt(0)
	global_atomic_add_x2 v[10:11], v[6:7], off offset:8
.LBB11_73:                              ;   in Loop: Header=BB11_3 Depth=1
	s_or_b32 exec_lo, exec_lo, s12
	s_waitcnt vmcnt(0)
	global_load_dwordx2 v[12:13], v[10:11], off offset:16
	s_waitcnt vmcnt(0)
	v_cmp_eq_u64_e32 vcc_lo, 0, v[12:13]
	s_cbranch_vccnz .LBB11_75
; %bb.74:                               ;   in Loop: Header=BB11_3 Depth=1
	global_load_dword v6, v[10:11], off offset:24
	s_waitcnt vmcnt(0)
	v_readfirstlane_b32 s12, v6
	s_waitcnt_vscnt null, 0x0
	global_store_dwordx2 v[12:13], v[6:7], off
	s_and_b32 m0, s12, 0x7fffff
	s_sendmsg sendmsg(MSG_INTERRUPT)
.LBB11_75:                              ;   in Loop: Header=BB11_3 Depth=1
	s_or_b32 exec_lo, exec_lo, s5
	v_add_co_u32 v10, vcc_lo, v0, v29
	v_add_co_ci_u32_e64 v11, null, 0, v28, vcc_lo
	s_branch .LBB11_79
	.p2align	6
.LBB11_76:                              ;   in Loop: Header=BB11_79 Depth=2
	s_or_b32 exec_lo, exec_lo, s5
	v_readfirstlane_b32 s5, v0
	s_cmp_eq_u32 s5, 0
	s_cbranch_scc1 .LBB11_78
; %bb.77:                               ;   in Loop: Header=BB11_79 Depth=2
	s_sleep 1
	s_cbranch_execnz .LBB11_79
	s_branch .LBB11_81
	.p2align	6
.LBB11_78:                              ;   in Loop: Header=BB11_3 Depth=1
	s_branch .LBB11_81
.LBB11_79:                              ;   Parent Loop BB11_3 Depth=1
                                        ; =>  This Inner Loop Header: Depth=2
	v_mov_b32_e32 v0, 1
	s_and_saveexec_b32 s5, s4
	s_cbranch_execz .LBB11_76
; %bb.80:                               ;   in Loop: Header=BB11_79 Depth=2
	global_load_dword v0, v[32:33], off offset:20 glc dlc
	s_waitcnt vmcnt(0)
	buffer_gl1_inv
	buffer_gl0_inv
	v_and_b32_e32 v0, 1, v0
	s_branch .LBB11_76
.LBB11_81:                              ;   in Loop: Header=BB11_3 Depth=1
	global_load_dwordx4 v[10:13], v[10:11], off
	s_and_saveexec_b32 s12, s4
	s_cbranch_execz .LBB11_2
; %bb.82:                               ;   in Loop: Header=BB11_3 Depth=1
	s_clause 0x2
	global_load_dwordx2 v[12:13], v7, s[6:7] offset:40
	global_load_dwordx2 v[20:21], v7, s[6:7] offset:24 glc dlc
	global_load_dwordx2 v[14:15], v7, s[6:7]
	s_waitcnt vmcnt(2)
	v_readfirstlane_b32 s16, v12
	v_readfirstlane_b32 s17, v13
	s_add_u32 s13, s16, 1
	s_addc_u32 s18, s17, 0
	s_add_u32 s4, s13, s10
	s_addc_u32 s5, s18, s11
	s_cmp_eq_u64 s[4:5], 0
	s_cselect_b32 s5, s18, s5
	s_cselect_b32 s4, s13, s4
	v_mov_b32_e32 v19, s5
	s_and_b64 s[10:11], s[4:5], s[16:17]
	v_mov_b32_e32 v18, s4
	s_mul_i32 s11, s11, 24
	s_mul_hi_u32 s13, s10, 24
	s_mul_i32 s10, s10, 24
	s_add_i32 s13, s13, s11
	s_waitcnt vmcnt(0)
	v_add_co_u32 v16, vcc_lo, v14, s10
	v_add_co_ci_u32_e64 v17, null, s13, v15, vcc_lo
	global_store_dwordx2 v[16:17], v[20:21], off
	s_waitcnt_vscnt null, 0x0
	global_atomic_cmpswap_x2 v[14:15], v7, v[18:21], s[6:7] offset:24 glc
	s_waitcnt vmcnt(0)
	v_cmp_ne_u64_e32 vcc_lo, v[14:15], v[20:21]
	s_and_b32 exec_lo, exec_lo, vcc_lo
	s_cbranch_execz .LBB11_2
; %bb.83:                               ;   in Loop: Header=BB11_3 Depth=1
	s_mov_b32 s10, 0
.LBB11_84:                              ;   Parent Loop BB11_3 Depth=1
                                        ; =>  This Inner Loop Header: Depth=2
	v_mov_b32_e32 v12, s4
	v_mov_b32_e32 v13, s5
	s_sleep 1
	global_store_dwordx2 v[16:17], v[14:15], off
	s_waitcnt_vscnt null, 0x0
	global_atomic_cmpswap_x2 v[12:13], v7, v[12:15], s[6:7] offset:24 glc
	s_waitcnt vmcnt(0)
	v_cmp_eq_u64_e32 vcc_lo, v[12:13], v[14:15]
	v_mov_b32_e32 v15, v13
	v_mov_b32_e32 v14, v12
	s_or_b32 s10, vcc_lo, s10
	s_andn2_b32 exec_lo, exec_lo, s10
	s_cbranch_execnz .LBB11_84
	s_branch .LBB11_2
.LBB11_85:
	s_or_b32 exec_lo, exec_lo, s15
	s_branch .LBB11_114
.LBB11_86:
	s_load_dwordx2 s[6:7], s[8:9], 0x50
	v_readfirstlane_b32 s4, v35
	v_mov_b32_e32 v8, 0
	v_mov_b32_e32 v9, 0
	v_cmp_eq_u32_e64 s4, s4, v35
	s_and_saveexec_b32 s5, s4
	s_cbranch_execz .LBB11_92
; %bb.87:
	v_mov_b32_e32 v0, 0
	s_mov_b32 s8, exec_lo
	s_waitcnt lgkmcnt(0)
	global_load_dwordx2 v[4:5], v0, s[6:7] offset:24 glc dlc
	s_waitcnt vmcnt(0)
	buffer_gl1_inv
	buffer_gl0_inv
	s_clause 0x1
	global_load_dwordx2 v[2:3], v0, s[6:7] offset:40
	global_load_dwordx2 v[6:7], v0, s[6:7]
	s_waitcnt vmcnt(1)
	v_and_b32_e32 v3, v3, v5
	v_and_b32_e32 v2, v2, v4
	v_mul_lo_u32 v3, v3, 24
	v_mul_hi_u32 v8, v2, 24
	v_mul_lo_u32 v2, v2, 24
	v_add_nc_u32_e32 v3, v8, v3
	s_waitcnt vmcnt(0)
	v_add_co_u32 v2, vcc_lo, v6, v2
	v_add_co_ci_u32_e64 v3, null, v7, v3, vcc_lo
	global_load_dwordx2 v[2:3], v[2:3], off glc dlc
	s_waitcnt vmcnt(0)
	global_atomic_cmpswap_x2 v[8:9], v0, v[2:5], s[6:7] offset:24 glc
	s_waitcnt vmcnt(0)
	buffer_gl1_inv
	buffer_gl0_inv
	v_cmpx_ne_u64_e64 v[8:9], v[4:5]
	s_cbranch_execz .LBB11_91
; %bb.88:
	s_mov_b32 s9, 0
	.p2align	6
.LBB11_89:                              ; =>This Inner Loop Header: Depth=1
	s_sleep 1
	s_clause 0x1
	global_load_dwordx2 v[2:3], v0, s[6:7] offset:40
	global_load_dwordx2 v[6:7], v0, s[6:7]
	v_mov_b32_e32 v4, v8
	v_mov_b32_e32 v5, v9
	s_waitcnt vmcnt(1)
	v_and_b32_e32 v2, v2, v4
	v_and_b32_e32 v3, v3, v5
	s_waitcnt vmcnt(0)
	v_mad_u64_u32 v[6:7], null, v2, 24, v[6:7]
	v_mov_b32_e32 v2, v7
	v_mad_u64_u32 v[2:3], null, v3, 24, v[2:3]
	v_mov_b32_e32 v7, v2
	global_load_dwordx2 v[2:3], v[6:7], off glc dlc
	s_waitcnt vmcnt(0)
	global_atomic_cmpswap_x2 v[8:9], v0, v[2:5], s[6:7] offset:24 glc
	s_waitcnt vmcnt(0)
	buffer_gl1_inv
	buffer_gl0_inv
	v_cmp_eq_u64_e32 vcc_lo, v[8:9], v[4:5]
	s_or_b32 s9, vcc_lo, s9
	s_andn2_b32 exec_lo, exec_lo, s9
	s_cbranch_execnz .LBB11_89
; %bb.90:
	s_or_b32 exec_lo, exec_lo, s9
.LBB11_91:
	s_or_b32 exec_lo, exec_lo, s8
.LBB11_92:
	s_or_b32 exec_lo, exec_lo, s5
	v_mov_b32_e32 v2, 0
	v_readfirstlane_b32 s9, v9
	v_readfirstlane_b32 s8, v8
	s_mov_b32 s5, exec_lo
	s_waitcnt lgkmcnt(0)
	s_clause 0x1
	global_load_dwordx2 v[10:11], v2, s[6:7] offset:40
	global_load_dwordx4 v[4:7], v2, s[6:7]
	s_waitcnt vmcnt(1)
	v_readfirstlane_b32 s10, v10
	v_readfirstlane_b32 s11, v11
	s_and_b64 s[10:11], s[10:11], s[8:9]
	s_mul_i32 s12, s11, 24
	s_mul_hi_u32 s13, s10, 24
	s_mul_i32 s14, s10, 24
	s_add_i32 s13, s13, s12
	s_waitcnt vmcnt(0)
	v_add_co_u32 v8, vcc_lo, v4, s14
	v_add_co_ci_u32_e64 v9, null, s13, v5, vcc_lo
	s_and_saveexec_b32 s12, s4
	s_cbranch_execz .LBB11_94
; %bb.93:
	v_mov_b32_e32 v10, s5
	v_mov_b32_e32 v11, v2
	;; [unrolled: 1-line block ×4, first 2 shown]
	global_store_dwordx4 v[8:9], v[10:13], off offset:8
.LBB11_94:
	s_or_b32 exec_lo, exec_lo, s12
	s_lshl_b64 s[10:11], s[10:11], 12
	s_mov_b32 s12, 0
	v_add_co_u32 v6, vcc_lo, v6, s10
	v_add_co_ci_u32_e64 v7, null, s11, v7, vcc_lo
	s_mov_b32 s13, s12
	s_mov_b32 s14, s12
	;; [unrolled: 1-line block ×3, first 2 shown]
	v_and_or_b32 v0, 0xffffff1f, v34, 32
	v_lshlrev_b32_e32 v14, 6, v35
	v_mov_b32_e32 v3, v2
	v_readfirstlane_b32 s10, v6
	v_readfirstlane_b32 s11, v7
	v_mov_b32_e32 v10, s12
	v_mov_b32_e32 v11, s13
	v_mov_b32_e32 v12, s14
	v_mov_b32_e32 v13, s15
	global_store_dwordx4 v14, v[0:3], s[10:11]
	global_store_dwordx4 v14, v[10:13], s[10:11] offset:16
	global_store_dwordx4 v14, v[10:13], s[10:11] offset:32
	;; [unrolled: 1-line block ×3, first 2 shown]
	s_and_saveexec_b32 s5, s4
	s_cbranch_execz .LBB11_102
; %bb.95:
	v_mov_b32_e32 v6, 0
	v_mov_b32_e32 v10, s8
	;; [unrolled: 1-line block ×3, first 2 shown]
	s_mov_b32 s10, exec_lo
	s_clause 0x1
	global_load_dwordx2 v[12:13], v6, s[6:7] offset:32 glc dlc
	global_load_dwordx2 v[0:1], v6, s[6:7] offset:40
	s_waitcnt vmcnt(0)
	v_and_b32_e32 v1, s9, v1
	v_and_b32_e32 v0, s8, v0
	v_mul_lo_u32 v1, v1, 24
	v_mul_hi_u32 v2, v0, 24
	v_mul_lo_u32 v0, v0, 24
	v_add_nc_u32_e32 v1, v2, v1
	v_add_co_u32 v4, vcc_lo, v4, v0
	v_add_co_ci_u32_e64 v5, null, v5, v1, vcc_lo
	global_store_dwordx2 v[4:5], v[12:13], off
	s_waitcnt_vscnt null, 0x0
	global_atomic_cmpswap_x2 v[2:3], v6, v[10:13], s[6:7] offset:32 glc
	s_waitcnt vmcnt(0)
	v_cmpx_ne_u64_e64 v[2:3], v[12:13]
	s_cbranch_execz .LBB11_98
; %bb.96:
	s_mov_b32 s11, 0
.LBB11_97:                              ; =>This Inner Loop Header: Depth=1
	v_mov_b32_e32 v0, s8
	v_mov_b32_e32 v1, s9
	s_sleep 1
	global_store_dwordx2 v[4:5], v[2:3], off
	s_waitcnt_vscnt null, 0x0
	global_atomic_cmpswap_x2 v[0:1], v6, v[0:3], s[6:7] offset:32 glc
	s_waitcnt vmcnt(0)
	v_cmp_eq_u64_e32 vcc_lo, v[0:1], v[2:3]
	v_mov_b32_e32 v3, v1
	v_mov_b32_e32 v2, v0
	s_or_b32 s11, vcc_lo, s11
	s_andn2_b32 exec_lo, exec_lo, s11
	s_cbranch_execnz .LBB11_97
.LBB11_98:
	s_or_b32 exec_lo, exec_lo, s10
	v_mov_b32_e32 v3, 0
	s_mov_b32 s11, exec_lo
	s_mov_b32 s10, exec_lo
	v_mbcnt_lo_u32_b32 v2, s11, 0
	global_load_dwordx2 v[0:1], v3, s[6:7] offset:16
	v_cmpx_eq_u32_e32 0, v2
	s_cbranch_execz .LBB11_100
; %bb.99:
	s_bcnt1_i32_b32 s11, s11
	v_mov_b32_e32 v2, s11
	s_waitcnt vmcnt(0)
	global_atomic_add_x2 v[0:1], v[2:3], off offset:8
.LBB11_100:
	s_or_b32 exec_lo, exec_lo, s10
	s_waitcnt vmcnt(0)
	global_load_dwordx2 v[2:3], v[0:1], off offset:16
	s_waitcnt vmcnt(0)
	v_cmp_eq_u64_e32 vcc_lo, 0, v[2:3]
	s_cbranch_vccnz .LBB11_102
; %bb.101:
	global_load_dword v0, v[0:1], off offset:24
	v_mov_b32_e32 v1, 0
	s_waitcnt vmcnt(0)
	v_readfirstlane_b32 s10, v0
	s_waitcnt_vscnt null, 0x0
	global_store_dwordx2 v[2:3], v[0:1], off
	s_and_b32 m0, s10, 0x7fffff
	s_sendmsg sendmsg(MSG_INTERRUPT)
.LBB11_102:
	s_or_b32 exec_lo, exec_lo, s5
	s_branch .LBB11_106
	.p2align	6
.LBB11_103:                             ;   in Loop: Header=BB11_106 Depth=1
	s_or_b32 exec_lo, exec_lo, s5
	v_readfirstlane_b32 s5, v0
	s_cmp_eq_u32 s5, 0
	s_cbranch_scc1 .LBB11_105
; %bb.104:                              ;   in Loop: Header=BB11_106 Depth=1
	s_sleep 1
	s_cbranch_execnz .LBB11_106
	s_branch .LBB11_108
	.p2align	6
.LBB11_105:
	s_branch .LBB11_108
.LBB11_106:                             ; =>This Inner Loop Header: Depth=1
	v_mov_b32_e32 v0, 1
	s_and_saveexec_b32 s5, s4
	s_cbranch_execz .LBB11_103
; %bb.107:                              ;   in Loop: Header=BB11_106 Depth=1
	global_load_dword v0, v[8:9], off offset:20 glc dlc
	s_waitcnt vmcnt(0)
	buffer_gl1_inv
	buffer_gl0_inv
	v_and_b32_e32 v0, 1, v0
	s_branch .LBB11_103
.LBB11_108:
	s_and_saveexec_b32 s10, s4
	s_cbranch_execz .LBB11_112
; %bb.109:
	v_mov_b32_e32 v6, 0
	s_clause 0x2
	global_load_dwordx2 v[0:1], v6, s[6:7] offset:40
	global_load_dwordx2 v[9:10], v6, s[6:7] offset:24 glc dlc
	global_load_dwordx2 v[2:3], v6, s[6:7]
	s_waitcnt vmcnt(2)
	v_readfirstlane_b32 s12, v0
	v_readfirstlane_b32 s13, v1
	s_add_u32 s11, s12, 1
	s_addc_u32 s14, s13, 0
	s_add_u32 s4, s11, s8
	s_addc_u32 s5, s14, s9
	s_cmp_eq_u64 s[4:5], 0
	s_cselect_b32 s5, s14, s5
	s_cselect_b32 s4, s11, s4
	v_mov_b32_e32 v8, s5
	s_and_b64 s[8:9], s[4:5], s[12:13]
	v_mov_b32_e32 v7, s4
	s_mul_i32 s9, s9, 24
	s_mul_hi_u32 s11, s8, 24
	s_mul_i32 s8, s8, 24
	s_add_i32 s11, s11, s9
	s_waitcnt vmcnt(0)
	v_add_co_u32 v4, vcc_lo, v2, s8
	v_add_co_ci_u32_e64 v5, null, s11, v3, vcc_lo
	global_store_dwordx2 v[4:5], v[9:10], off
	s_waitcnt_vscnt null, 0x0
	global_atomic_cmpswap_x2 v[2:3], v6, v[7:10], s[6:7] offset:24 glc
	s_waitcnt vmcnt(0)
	v_cmp_ne_u64_e32 vcc_lo, v[2:3], v[9:10]
	s_and_b32 exec_lo, exec_lo, vcc_lo
	s_cbranch_execz .LBB11_112
; %bb.110:
	s_mov_b32 s8, 0
.LBB11_111:                             ; =>This Inner Loop Header: Depth=1
	v_mov_b32_e32 v0, s4
	v_mov_b32_e32 v1, s5
	s_sleep 1
	global_store_dwordx2 v[4:5], v[2:3], off
	s_waitcnt_vscnt null, 0x0
	global_atomic_cmpswap_x2 v[0:1], v6, v[0:3], s[6:7] offset:24 glc
	s_waitcnt vmcnt(0)
	v_cmp_eq_u64_e32 vcc_lo, v[0:1], v[2:3]
	v_mov_b32_e32 v3, v1
	v_mov_b32_e32 v2, v0
	s_or_b32 s8, vcc_lo, s8
	s_andn2_b32 exec_lo, exec_lo, s8
	s_cbranch_execnz .LBB11_111
.LBB11_112:
	s_or_b32 exec_lo, exec_lo, s10
	s_waitcnt lgkmcnt(0)
	s_setpc_b64 s[30:31]
.LBB11_113:
	s_cbranch_execnz .LBB11_86
.LBB11_114:
	s_waitcnt vmcnt(0) lgkmcnt(0)
	s_setpc_b64 s[30:31]
.Lfunc_end11:
	.size	__ockl_fprintf_append_string_n, .Lfunc_end11-__ockl_fprintf_append_string_n
                                        ; -- End function
	.set .L__ockl_fprintf_append_string_n.num_vgpr, 39
	.set .L__ockl_fprintf_append_string_n.num_agpr, 0
	.set .L__ockl_fprintf_append_string_n.numbered_sgpr, 32
	.set .L__ockl_fprintf_append_string_n.num_named_barrier, 0
	.set .L__ockl_fprintf_append_string_n.private_seg_size, 0
	.set .L__ockl_fprintf_append_string_n.uses_vcc, 1
	.set .L__ockl_fprintf_append_string_n.uses_flat_scratch, 0
	.set .L__ockl_fprintf_append_string_n.has_dyn_sized_stack, 0
	.set .L__ockl_fprintf_append_string_n.has_recursion, 0
	.set .L__ockl_fprintf_append_string_n.has_indirect_call, 0
	.section	.AMDGPU.csdata,"",@progbits
; Function info:
; codeLenInByte = 4528
; TotalNumSgprs: 34
; NumVgprs: 39
; ScratchSize: 0
; MemoryBound: 0
	.text
	.p2align	2                               ; -- Begin function __assert_fail
	.type	__assert_fail,@function
__assert_fail:                          ; @__assert_fail
; %bb.0:
	s_waitcnt vmcnt(0) expcnt(0) lgkmcnt(0)
	s_mov_b32 s24, s33
	s_mov_b32 s33, s32
	s_xor_saveexec_b32 s4, -1
	buffer_store_dword v39, off, s[0:3], s33 offset:48 ; 4-byte Folded Spill
	s_mov_b32 exec_lo, s4
	v_writelane_b32 v39, s30, 0
	s_addk_i32 s32, 0x800
	v_writelane_b32 v39, s31, 1
	v_mov_b32_e32 v4, v0
	v_mov_b32_e32 v0, 0
	s_getpc_b64 s[4:5]
	s_add_u32 s4, s4, __const.__assert_fail.fmt@rel32@lo+35
	s_addc_u32 s5, s5, __const.__assert_fail.fmt@rel32@hi+43
	v_mbcnt_lo_u32_b32 v32, -1, 0
	v_mov_b32_e32 v6, 0
	v_mov_b32_e32 v5, v1
	global_load_dwordx4 v[8:11], v0, s[4:5]
	s_getpc_b64 s[4:5]
	s_add_u32 s4, s4, __const.__assert_fail.fmt@rel32@lo+4
	s_addc_u32 s5, s5, __const.__assert_fail.fmt@rel32@hi+12
	s_getpc_b64 s[6:7]
	s_add_u32 s6, s6, __const.__assert_fail.fmt@rel32@lo+20
	s_addc_u32 s7, s7, __const.__assert_fail.fmt@rel32@hi+28
	s_clause 0x1
	s_load_dwordx4 s[12:15], s[4:5], 0x0
	s_load_dwordx4 s[16:19], s[6:7], 0x0
	s_load_dwordx2 s[6:7], s[8:9], 0x50
	v_readfirstlane_b32 s4, v32
	v_mov_b32_e32 v7, 0
	v_cmp_eq_u32_e64 s4, s4, v32
	s_waitcnt lgkmcnt(0)
	v_mov_b32_e32 v1, s15
	v_mov_b32_e32 v2, s14
	;; [unrolled: 1-line block ×8, first 2 shown]
	buffer_store_dword v1, off, s[0:3], s33 offset:12
	buffer_store_dword v2, off, s[0:3], s33 offset:8
	;; [unrolled: 1-line block ×3, first 2 shown]
	buffer_store_dword v12, off, s[0:3], s33
	buffer_store_dword v13, off, s[0:3], s33 offset:28
	buffer_store_dword v14, off, s[0:3], s33 offset:24
	;; [unrolled: 1-line block ×4, first 2 shown]
	s_waitcnt vmcnt(0)
	buffer_store_dword v11, off, s[0:3], s33 offset:43
	buffer_store_dword v10, off, s[0:3], s33 offset:39
	;; [unrolled: 1-line block ×4, first 2 shown]
	s_and_saveexec_b32 s5, s4
	s_cbranch_execz .LBB12_6
; %bb.1:
	global_load_dwordx2 v[8:9], v0, s[6:7] offset:24 glc dlc
	s_waitcnt vmcnt(0)
	buffer_gl1_inv
	buffer_gl0_inv
	s_clause 0x1
	global_load_dwordx2 v[1:2], v0, s[6:7] offset:40
	global_load_dwordx2 v[6:7], v0, s[6:7]
	s_mov_b32 s10, exec_lo
	s_waitcnt vmcnt(1)
	v_and_b32_e32 v2, v2, v9
	v_and_b32_e32 v1, v1, v8
	v_mul_lo_u32 v2, v2, 24
	v_mul_hi_u32 v3, v1, 24
	v_mul_lo_u32 v1, v1, 24
	v_add_nc_u32_e32 v2, v3, v2
	s_waitcnt vmcnt(0)
	v_add_co_u32 v1, vcc_lo, v6, v1
	v_add_co_ci_u32_e64 v2, null, v7, v2, vcc_lo
	global_load_dwordx2 v[6:7], v[1:2], off glc dlc
	s_waitcnt vmcnt(0)
	global_atomic_cmpswap_x2 v[6:7], v0, v[6:9], s[6:7] offset:24 glc
	s_waitcnt vmcnt(0)
	buffer_gl1_inv
	buffer_gl0_inv
	v_cmpx_ne_u64_e64 v[6:7], v[8:9]
	s_cbranch_execz .LBB12_5
; %bb.2:
	v_mov_b32_e32 v1, 0
	s_mov_b32 s11, 0
	.p2align	6
.LBB12_3:                               ; =>This Inner Loop Header: Depth=1
	s_sleep 1
	s_clause 0x1
	global_load_dwordx2 v[2:3], v1, s[6:7] offset:40
	global_load_dwordx2 v[10:11], v1, s[6:7]
	v_mov_b32_e32 v9, v7
	v_mov_b32_e32 v8, v6
	s_waitcnt vmcnt(1)
	v_and_b32_e32 v2, v2, v8
	v_and_b32_e32 v3, v3, v9
	s_waitcnt vmcnt(0)
	v_mad_u64_u32 v[6:7], null, v2, 24, v[10:11]
	v_mov_b32_e32 v2, v7
	v_mad_u64_u32 v[2:3], null, v3, 24, v[2:3]
	v_mov_b32_e32 v7, v2
	global_load_dwordx2 v[6:7], v[6:7], off glc dlc
	s_waitcnt vmcnt(0)
	global_atomic_cmpswap_x2 v[6:7], v1, v[6:9], s[6:7] offset:24 glc
	s_waitcnt vmcnt(0)
	buffer_gl1_inv
	buffer_gl0_inv
	v_cmp_eq_u64_e32 vcc_lo, v[6:7], v[8:9]
	s_or_b32 s11, vcc_lo, s11
	s_andn2_b32 exec_lo, exec_lo, s11
	s_cbranch_execnz .LBB12_3
; %bb.4:
	s_or_b32 exec_lo, exec_lo, s11
.LBB12_5:
	s_or_b32 exec_lo, exec_lo, s10
.LBB12_6:
	s_or_b32 exec_lo, exec_lo, s5
	s_clause 0x1
	global_load_dwordx2 v[8:9], v0, s[6:7] offset:40
	global_load_dwordx4 v[0:3], v0, s[6:7]
	v_readfirstlane_b32 s11, v7
	v_readfirstlane_b32 s10, v6
	s_mov_b32 s5, exec_lo
	s_waitcnt vmcnt(1)
	v_readfirstlane_b32 s12, v8
	v_readfirstlane_b32 s13, v9
	s_and_b64 s[12:13], s[12:13], s[10:11]
	s_mul_i32 s14, s13, 24
	s_mul_hi_u32 s15, s12, 24
	s_mul_i32 s16, s12, 24
	s_add_i32 s15, s15, s14
	s_waitcnt vmcnt(0)
	v_add_co_u32 v10, vcc_lo, v0, s16
	v_add_co_ci_u32_e64 v11, null, s15, v1, vcc_lo
	s_and_saveexec_b32 s14, s4
	s_cbranch_execz .LBB12_8
; %bb.7:
	v_mov_b32_e32 v6, s5
	v_mov_b32_e32 v7, 0
	;; [unrolled: 1-line block ×4, first 2 shown]
	global_store_dwordx4 v[10:11], v[6:9], off offset:8
.LBB12_8:
	s_or_b32 exec_lo, exec_lo, s14
	s_lshl_b64 s[12:13], s[12:13], 12
	v_lshlrev_b32_e32 v33, 6, v32
	v_add_co_u32 v2, vcc_lo, v2, s12
	v_add_co_ci_u32_e64 v3, null, s13, v3, vcc_lo
	v_mov_b32_e32 v7, 0
	s_mov_b32 s12, 0
	v_add_co_u32 v12, vcc_lo, v2, v33
	s_mov_b32 s15, s12
	s_mov_b32 s13, s12
	;; [unrolled: 1-line block ×3, first 2 shown]
	v_mov_b32_e32 v6, 33
	v_mov_b32_e32 v8, 1
	;; [unrolled: 1-line block ×3, first 2 shown]
	v_readfirstlane_b32 s16, v2
	v_readfirstlane_b32 s17, v3
	v_mov_b32_e32 v17, s15
	v_add_co_ci_u32_e64 v13, null, 0, v3, vcc_lo
	v_mov_b32_e32 v16, s14
	v_mov_b32_e32 v15, s13
	;; [unrolled: 1-line block ×3, first 2 shown]
	global_store_dwordx4 v33, v[6:9], s[16:17]
	global_store_dwordx4 v33, v[14:17], s[16:17] offset:16
	global_store_dwordx4 v33, v[14:17], s[16:17] offset:32
	;; [unrolled: 1-line block ×3, first 2 shown]
	s_and_saveexec_b32 s5, s4
	s_cbranch_execz .LBB12_16
; %bb.9:
	s_clause 0x1
	global_load_dwordx2 v[16:17], v7, s[6:7] offset:32 glc dlc
	global_load_dwordx2 v[2:3], v7, s[6:7] offset:40
	v_mov_b32_e32 v14, s10
	v_mov_b32_e32 v15, s11
	s_mov_b32 s12, exec_lo
	s_waitcnt vmcnt(0)
	v_and_b32_e32 v3, s11, v3
	v_and_b32_e32 v2, s10, v2
	v_mul_lo_u32 v3, v3, 24
	v_mul_hi_u32 v6, v2, 24
	v_mul_lo_u32 v2, v2, 24
	v_add_nc_u32_e32 v3, v6, v3
	v_add_co_u32 v8, vcc_lo, v0, v2
	v_add_co_ci_u32_e64 v9, null, v1, v3, vcc_lo
	global_store_dwordx2 v[8:9], v[16:17], off
	s_waitcnt_vscnt null, 0x0
	global_atomic_cmpswap_x2 v[2:3], v7, v[14:17], s[6:7] offset:32 glc
	s_waitcnt vmcnt(0)
	v_cmpx_ne_u64_e64 v[2:3], v[16:17]
	s_cbranch_execz .LBB12_12
; %bb.10:
	v_mov_b32_e32 v6, 0
	s_mov_b32 s13, 0
.LBB12_11:                              ; =>This Inner Loop Header: Depth=1
	v_mov_b32_e32 v0, s10
	v_mov_b32_e32 v1, s11
	s_sleep 1
	global_store_dwordx2 v[8:9], v[2:3], off
	s_waitcnt_vscnt null, 0x0
	global_atomic_cmpswap_x2 v[0:1], v6, v[0:3], s[6:7] offset:32 glc
	s_waitcnt vmcnt(0)
	v_cmp_eq_u64_e32 vcc_lo, v[0:1], v[2:3]
	v_mov_b32_e32 v3, v1
	v_mov_b32_e32 v2, v0
	s_or_b32 s13, vcc_lo, s13
	s_andn2_b32 exec_lo, exec_lo, s13
	s_cbranch_execnz .LBB12_11
.LBB12_12:
	s_or_b32 exec_lo, exec_lo, s12
	v_mov_b32_e32 v3, 0
	s_mov_b32 s13, exec_lo
	s_mov_b32 s12, exec_lo
	v_mbcnt_lo_u32_b32 v2, s13, 0
	global_load_dwordx2 v[0:1], v3, s[6:7] offset:16
	v_cmpx_eq_u32_e32 0, v2
	s_cbranch_execz .LBB12_14
; %bb.13:
	s_bcnt1_i32_b32 s13, s13
	v_mov_b32_e32 v2, s13
	s_waitcnt vmcnt(0)
	global_atomic_add_x2 v[0:1], v[2:3], off offset:8
.LBB12_14:
	s_or_b32 exec_lo, exec_lo, s12
	s_waitcnt vmcnt(0)
	global_load_dwordx2 v[2:3], v[0:1], off offset:16
	s_waitcnt vmcnt(0)
	v_cmp_eq_u64_e32 vcc_lo, 0, v[2:3]
	s_cbranch_vccnz .LBB12_16
; %bb.15:
	global_load_dword v0, v[0:1], off offset:24
	v_mov_b32_e32 v1, 0
	s_waitcnt vmcnt(0)
	v_readfirstlane_b32 s12, v0
	s_waitcnt_vscnt null, 0x0
	global_store_dwordx2 v[2:3], v[0:1], off
	s_and_b32 m0, s12, 0x7fffff
	s_sendmsg sendmsg(MSG_INTERRUPT)
.LBB12_16:
	s_or_b32 exec_lo, exec_lo, s5
	s_branch .LBB12_20
	.p2align	6
.LBB12_17:                              ;   in Loop: Header=BB12_20 Depth=1
	s_or_b32 exec_lo, exec_lo, s5
	v_readfirstlane_b32 s5, v0
	s_cmp_eq_u32 s5, 0
	s_cbranch_scc1 .LBB12_19
; %bb.18:                               ;   in Loop: Header=BB12_20 Depth=1
	s_sleep 1
	s_cbranch_execnz .LBB12_20
	s_branch .LBB12_22
	.p2align	6
.LBB12_19:
	s_branch .LBB12_22
.LBB12_20:                              ; =>This Inner Loop Header: Depth=1
	v_mov_b32_e32 v0, 1
	s_and_saveexec_b32 s5, s4
	s_cbranch_execz .LBB12_17
; %bb.21:                               ;   in Loop: Header=BB12_20 Depth=1
	global_load_dword v0, v[10:11], off offset:20 glc dlc
	s_waitcnt vmcnt(0)
	buffer_gl1_inv
	buffer_gl0_inv
	v_and_b32_e32 v0, 1, v0
	s_branch .LBB12_17
.LBB12_22:
	global_load_dwordx2 v[6:7], v[12:13], off
	s_and_saveexec_b32 s12, s4
	s_cbranch_execz .LBB12_26
; %bb.23:
	v_mov_b32_e32 v10, 0
	s_clause 0x2
	global_load_dwordx2 v[0:1], v10, s[6:7] offset:40
	global_load_dwordx2 v[13:14], v10, s[6:7] offset:24 glc dlc
	global_load_dwordx2 v[2:3], v10, s[6:7]
	s_waitcnt vmcnt(2)
	v_readfirstlane_b32 s14, v0
	v_readfirstlane_b32 s15, v1
	s_add_u32 s13, s14, 1
	s_addc_u32 s16, s15, 0
	s_add_u32 s4, s13, s10
	s_addc_u32 s5, s16, s11
	s_cmp_eq_u64 s[4:5], 0
	s_cselect_b32 s5, s16, s5
	s_cselect_b32 s4, s13, s4
	v_mov_b32_e32 v12, s5
	s_and_b64 s[10:11], s[4:5], s[14:15]
	v_mov_b32_e32 v11, s4
	s_mul_i32 s11, s11, 24
	s_mul_hi_u32 s13, s10, 24
	s_mul_i32 s10, s10, 24
	s_add_i32 s13, s13, s11
	s_waitcnt vmcnt(0)
	v_add_co_u32 v8, vcc_lo, v2, s10
	v_add_co_ci_u32_e64 v9, null, s13, v3, vcc_lo
	global_store_dwordx2 v[8:9], v[13:14], off
	s_waitcnt_vscnt null, 0x0
	global_atomic_cmpswap_x2 v[2:3], v10, v[11:14], s[6:7] offset:24 glc
	s_waitcnt vmcnt(0)
	v_cmp_ne_u64_e32 vcc_lo, v[2:3], v[13:14]
	s_and_b32 exec_lo, exec_lo, vcc_lo
	s_cbranch_execz .LBB12_26
; %bb.24:
	s_mov_b32 s10, 0
.LBB12_25:                              ; =>This Inner Loop Header: Depth=1
	v_mov_b32_e32 v0, s4
	v_mov_b32_e32 v1, s5
	s_sleep 1
	global_store_dwordx2 v[8:9], v[2:3], off
	s_waitcnt_vscnt null, 0x0
	global_atomic_cmpswap_x2 v[0:1], v10, v[0:3], s[6:7] offset:24 glc
	s_waitcnt vmcnt(0)
	v_cmp_eq_u64_e32 vcc_lo, v[0:1], v[2:3]
	v_mov_b32_e32 v3, v1
	v_mov_b32_e32 v2, v0
	s_or_b32 s10, vcc_lo, s10
	s_andn2_b32 exec_lo, exec_lo, s10
	s_cbranch_execnz .LBB12_25
.LBB12_26:
	s_or_b32 exec_lo, exec_lo, s12
	s_lshr_b32 s5, s33, 5
	s_mov_b32 s4, 0
.LBB12_27:                              ; =>This Inner Loop Header: Depth=1
	v_mov_b32_e32 v0, s5
	s_add_i32 s5, s5, 1
	buffer_load_ubyte v0, v0, s[0:3], 0 offen
	s_waitcnt vmcnt(0)
	v_cmp_eq_u16_e32 vcc_lo, 0, v0
	v_mov_b32_e32 v0, s5
	s_or_b32 s4, vcc_lo, s4
	s_andn2_b32 exec_lo, exec_lo, s4
	s_cbranch_execnz .LBB12_27
; %bb.28:
	s_or_b32 exec_lo, exec_lo, s4
	s_lshr_b32 s4, s33, 5
	s_cmp_lg_u32 s4, -1
	s_cbranch_scc0 .LBB12_113
; %bb.29:
	v_lshrrev_b32_e64 v1, 5, s33
	v_and_b32_e32 v34, 2, v6
	v_mov_b32_e32 v9, 0
	v_lshrrev_b32_e64 v35, 5, s33
	v_mov_b32_e32 v10, 2
	v_subrev_nc_u32_e32 v28, v1, v0
	v_and_b32_e32 v0, -3, v6
	v_mov_b32_e32 v1, v7
	v_mov_b32_e32 v11, 1
	s_mov_b32 s15, 0
	v_ashrrev_i32_e32 v29, 31, v28
	s_mov_b32 s14, 0
	s_branch .LBB12_31
.LBB12_30:                              ;   in Loop: Header=BB12_31 Depth=1
	s_or_b32 exec_lo, exec_lo, s12
	v_sub_co_u32 v28, vcc_lo, v28, v36
	v_sub_co_ci_u32_e64 v29, null, v29, v26, vcc_lo
	v_add_nc_u32_e32 v35, v35, v36
	v_cmp_eq_u64_e32 vcc_lo, 0, v[28:29]
	s_or_b32 s14, vcc_lo, s14
	s_andn2_b32 exec_lo, exec_lo, s14
	s_cbranch_execz .LBB12_114
.LBB12_31:                              ; =>This Loop Header: Depth=1
                                        ;     Child Loop BB12_34 Depth 2
                                        ;     Child Loop BB12_42 Depth 2
                                        ;     Child Loop BB12_50 Depth 2
                                        ;     Child Loop BB12_58 Depth 2
                                        ;     Child Loop BB12_66 Depth 2
                                        ;     Child Loop BB12_74 Depth 2
                                        ;     Child Loop BB12_82 Depth 2
                                        ;     Child Loop BB12_90 Depth 2
                                        ;     Child Loop BB12_98 Depth 2
                                        ;     Child Loop BB12_107 Depth 2
                                        ;     Child Loop BB12_112 Depth 2
	v_cmp_gt_u64_e32 vcc_lo, 56, v[28:29]
	v_add_nc_u32_e32 v14, 8, v35
	s_mov_b32 s5, exec_lo
	v_cndmask_b32_e32 v36, 56, v28, vcc_lo
	v_cmpx_gt_u64_e32 8, v[28:29]
	s_xor_b32 s5, exec_lo, s5
	s_cbranch_execz .LBB12_37
; %bb.32:                               ;   in Loop: Header=BB12_31 Depth=1
	v_mov_b32_e32 v2, 0
	v_mov_b32_e32 v3, 0
	s_mov_b32 s12, exec_lo
	v_cmpx_ne_u64_e32 0, v[28:29]
	s_cbranch_execz .LBB12_36
; %bb.33:                               ;   in Loop: Header=BB12_31 Depth=1
	v_mov_b32_e32 v2, 0
	v_mov_b32_e32 v3, 0
	s_mov_b64 s[10:11], 0
	s_mov_b32 s13, 0
	s_mov_b32 s16, 0
	.p2align	6
.LBB12_34:                              ;   Parent Loop BB12_31 Depth=1
                                        ; =>  This Inner Loop Header: Depth=2
	v_add_nc_u32_e32 v8, s16, v35
	v_mov_b32_e32 v13, s15
	s_add_i32 s16, s16, 1
	v_cmp_eq_u32_e64 s4, s16, v36
	buffer_load_ubyte v8, v8, s[0:3], 0 offen
	s_waitcnt vmcnt(0)
	v_and_b32_e32 v12, 0xffff, v8
	v_lshlrev_b64 v[12:13], s10, v[12:13]
	s_add_u32 s10, s10, 8
	s_addc_u32 s11, s11, 0
	s_or_b32 s13, s4, s13
	v_or_b32_e32 v3, v13, v3
	v_or_b32_e32 v2, v12, v2
	s_andn2_b32 exec_lo, exec_lo, s13
	s_cbranch_execnz .LBB12_34
; %bb.35:                               ;   in Loop: Header=BB12_31 Depth=1
	s_or_b32 exec_lo, exec_lo, s13
.LBB12_36:                              ;   in Loop: Header=BB12_31 Depth=1
	s_or_b32 exec_lo, exec_lo, s12
	v_mov_b32_e32 v14, v35
.LBB12_37:                              ;   in Loop: Header=BB12_31 Depth=1
	s_or_saveexec_b32 s4, s5
	v_mov_b32_e32 v15, 0
	s_xor_b32 exec_lo, exec_lo, s4
	s_cbranch_execz .LBB12_39
; %bb.38:                               ;   in Loop: Header=BB12_31 Depth=1
	s_clause 0x1
	buffer_load_dword v2, v35, s[0:3], 0 offen
	buffer_load_dword v3, v35, s[0:3], 0 offen offset:4
	v_add_nc_u32_e32 v15, -8, v36
.LBB12_39:                              ;   in Loop: Header=BB12_31 Depth=1
	s_or_b32 exec_lo, exec_lo, s4
	v_add_nc_u32_e32 v8, 8, v14
	s_mov_b32 s5, exec_lo
                                        ; implicit-def: $vgpr12_vgpr13
	v_cmpx_gt_u32_e32 8, v15
	s_xor_b32 s5, exec_lo, s5
	s_cbranch_execz .LBB12_45
; %bb.40:                               ;   in Loop: Header=BB12_31 Depth=1
	v_mov_b32_e32 v12, 0
	v_mov_b32_e32 v13, 0
	s_mov_b32 s12, exec_lo
	v_cmpx_ne_u32_e32 0, v15
	s_cbranch_execz .LBB12_44
; %bb.41:                               ;   in Loop: Header=BB12_31 Depth=1
	v_mov_b32_e32 v12, 0
	v_mov_b32_e32 v13, 0
	s_mov_b64 s[10:11], 0
	s_mov_b32 s13, 0
	s_mov_b32 s16, 0
	.p2align	6
.LBB12_42:                              ;   Parent Loop BB12_31 Depth=1
                                        ; =>  This Inner Loop Header: Depth=2
	v_add_nc_u32_e32 v8, s16, v14
	v_mov_b32_e32 v17, s15
	s_add_i32 s16, s16, 1
	v_cmp_eq_u32_e64 s4, s16, v15
	buffer_load_ubyte v8, v8, s[0:3], 0 offen
	s_waitcnt vmcnt(0)
	v_and_b32_e32 v16, 0xffff, v8
	v_lshlrev_b64 v[16:17], s10, v[16:17]
	s_add_u32 s10, s10, 8
	s_addc_u32 s11, s11, 0
	s_or_b32 s13, s4, s13
	v_or_b32_e32 v13, v17, v13
	v_or_b32_e32 v12, v16, v12
	s_andn2_b32 exec_lo, exec_lo, s13
	s_cbranch_execnz .LBB12_42
; %bb.43:                               ;   in Loop: Header=BB12_31 Depth=1
	s_or_b32 exec_lo, exec_lo, s13
.LBB12_44:                              ;   in Loop: Header=BB12_31 Depth=1
	s_or_b32 exec_lo, exec_lo, s12
	v_mov_b32_e32 v8, v14
                                        ; implicit-def: $vgpr15
.LBB12_45:                              ;   in Loop: Header=BB12_31 Depth=1
	s_or_saveexec_b32 s4, s5
	v_mov_b32_e32 v16, 0
	s_xor_b32 exec_lo, exec_lo, s4
	s_cbranch_execz .LBB12_47
; %bb.46:                               ;   in Loop: Header=BB12_31 Depth=1
	s_clause 0x1
	buffer_load_dword v12, v14, s[0:3], 0 offen
	buffer_load_dword v13, v14, s[0:3], 0 offen offset:4
	v_add_nc_u32_e32 v16, -8, v15
.LBB12_47:                              ;   in Loop: Header=BB12_31 Depth=1
	s_or_b32 exec_lo, exec_lo, s4
	v_add_nc_u32_e32 v18, 8, v8
	s_mov_b32 s5, exec_lo
	v_cmpx_gt_u32_e32 8, v16
	s_xor_b32 s5, exec_lo, s5
	s_cbranch_execz .LBB12_53
; %bb.48:                               ;   in Loop: Header=BB12_31 Depth=1
	v_mov_b32_e32 v14, 0
	v_mov_b32_e32 v15, 0
	s_mov_b32 s12, exec_lo
	v_cmpx_ne_u32_e32 0, v16
	s_cbranch_execz .LBB12_52
; %bb.49:                               ;   in Loop: Header=BB12_31 Depth=1
	v_mov_b32_e32 v14, 0
	v_mov_b32_e32 v15, 0
	s_mov_b64 s[10:11], 0
	s_mov_b32 s13, 0
	s_mov_b32 s16, 0
	.p2align	6
.LBB12_50:                              ;   Parent Loop BB12_31 Depth=1
                                        ; =>  This Inner Loop Header: Depth=2
	v_add_nc_u32_e32 v17, s16, v8
	v_mov_b32_e32 v18, s15
	s_add_i32 s16, s16, 1
	v_cmp_eq_u32_e64 s4, s16, v16
	buffer_load_ubyte v17, v17, s[0:3], 0 offen
	s_waitcnt vmcnt(0)
	v_and_b32_e32 v17, 0xffff, v17
	v_lshlrev_b64 v[17:18], s10, v[17:18]
	s_add_u32 s10, s10, 8
	s_addc_u32 s11, s11, 0
	s_or_b32 s13, s4, s13
	v_or_b32_e32 v15, v18, v15
	v_or_b32_e32 v14, v17, v14
	s_andn2_b32 exec_lo, exec_lo, s13
	s_cbranch_execnz .LBB12_50
; %bb.51:                               ;   in Loop: Header=BB12_31 Depth=1
	s_or_b32 exec_lo, exec_lo, s13
.LBB12_52:                              ;   in Loop: Header=BB12_31 Depth=1
	s_or_b32 exec_lo, exec_lo, s12
	v_mov_b32_e32 v18, v8
                                        ; implicit-def: $vgpr16
.LBB12_53:                              ;   in Loop: Header=BB12_31 Depth=1
	s_or_saveexec_b32 s4, s5
	v_mov_b32_e32 v19, 0
	s_xor_b32 exec_lo, exec_lo, s4
	s_cbranch_execz .LBB12_55
; %bb.54:                               ;   in Loop: Header=BB12_31 Depth=1
	s_clause 0x1
	buffer_load_dword v14, v8, s[0:3], 0 offen
	buffer_load_dword v15, v8, s[0:3], 0 offen offset:4
	v_add_nc_u32_e32 v19, -8, v16
.LBB12_55:                              ;   in Loop: Header=BB12_31 Depth=1
	s_or_b32 exec_lo, exec_lo, s4
	v_add_nc_u32_e32 v8, 8, v18
	s_mov_b32 s5, exec_lo
                                        ; implicit-def: $vgpr16_vgpr17
	v_cmpx_gt_u32_e32 8, v19
	s_xor_b32 s5, exec_lo, s5
	s_cbranch_execz .LBB12_61
; %bb.56:                               ;   in Loop: Header=BB12_31 Depth=1
	v_mov_b32_e32 v16, 0
	v_mov_b32_e32 v17, 0
	s_mov_b32 s12, exec_lo
	v_cmpx_ne_u32_e32 0, v19
	s_cbranch_execz .LBB12_60
; %bb.57:                               ;   in Loop: Header=BB12_31 Depth=1
	v_mov_b32_e32 v16, 0
	v_mov_b32_e32 v17, 0
	s_mov_b64 s[10:11], 0
	s_mov_b32 s13, 0
	s_mov_b32 s16, 0
	.p2align	6
.LBB12_58:                              ;   Parent Loop BB12_31 Depth=1
                                        ; =>  This Inner Loop Header: Depth=2
	v_add_nc_u32_e32 v8, s16, v18
	v_mov_b32_e32 v21, s15
	s_add_i32 s16, s16, 1
	v_cmp_eq_u32_e64 s4, s16, v19
	buffer_load_ubyte v8, v8, s[0:3], 0 offen
	s_waitcnt vmcnt(0)
	v_and_b32_e32 v20, 0xffff, v8
	v_lshlrev_b64 v[20:21], s10, v[20:21]
	s_add_u32 s10, s10, 8
	s_addc_u32 s11, s11, 0
	s_or_b32 s13, s4, s13
	v_or_b32_e32 v17, v21, v17
	v_or_b32_e32 v16, v20, v16
	s_andn2_b32 exec_lo, exec_lo, s13
	s_cbranch_execnz .LBB12_58
; %bb.59:                               ;   in Loop: Header=BB12_31 Depth=1
	s_or_b32 exec_lo, exec_lo, s13
.LBB12_60:                              ;   in Loop: Header=BB12_31 Depth=1
	s_or_b32 exec_lo, exec_lo, s12
	v_mov_b32_e32 v8, v18
                                        ; implicit-def: $vgpr19
.LBB12_61:                              ;   in Loop: Header=BB12_31 Depth=1
	s_or_saveexec_b32 s4, s5
	v_mov_b32_e32 v20, 0
	s_xor_b32 exec_lo, exec_lo, s4
	s_cbranch_execz .LBB12_63
; %bb.62:                               ;   in Loop: Header=BB12_31 Depth=1
	s_clause 0x1
	buffer_load_dword v16, v18, s[0:3], 0 offen
	buffer_load_dword v17, v18, s[0:3], 0 offen offset:4
	v_add_nc_u32_e32 v20, -8, v19
.LBB12_63:                              ;   in Loop: Header=BB12_31 Depth=1
	s_or_b32 exec_lo, exec_lo, s4
	v_add_nc_u32_e32 v22, 8, v8
	s_mov_b32 s5, exec_lo
	v_cmpx_gt_u32_e32 8, v20
	s_xor_b32 s5, exec_lo, s5
	s_cbranch_execz .LBB12_69
; %bb.64:                               ;   in Loop: Header=BB12_31 Depth=1
	v_mov_b32_e32 v18, 0
	v_mov_b32_e32 v19, 0
	s_mov_b32 s12, exec_lo
	v_cmpx_ne_u32_e32 0, v20
	s_cbranch_execz .LBB12_68
; %bb.65:                               ;   in Loop: Header=BB12_31 Depth=1
	v_mov_b32_e32 v18, 0
	v_mov_b32_e32 v19, 0
	s_mov_b64 s[10:11], 0
	s_mov_b32 s13, 0
	s_mov_b32 s16, 0
	.p2align	6
.LBB12_66:                              ;   Parent Loop BB12_31 Depth=1
                                        ; =>  This Inner Loop Header: Depth=2
	v_add_nc_u32_e32 v21, s16, v8
	v_mov_b32_e32 v22, s15
	s_add_i32 s16, s16, 1
	v_cmp_eq_u32_e64 s4, s16, v20
	buffer_load_ubyte v21, v21, s[0:3], 0 offen
	s_waitcnt vmcnt(0)
	v_and_b32_e32 v21, 0xffff, v21
	v_lshlrev_b64 v[21:22], s10, v[21:22]
	s_add_u32 s10, s10, 8
	s_addc_u32 s11, s11, 0
	s_or_b32 s13, s4, s13
	v_or_b32_e32 v19, v22, v19
	v_or_b32_e32 v18, v21, v18
	s_andn2_b32 exec_lo, exec_lo, s13
	s_cbranch_execnz .LBB12_66
; %bb.67:                               ;   in Loop: Header=BB12_31 Depth=1
	s_or_b32 exec_lo, exec_lo, s13
.LBB12_68:                              ;   in Loop: Header=BB12_31 Depth=1
	s_or_b32 exec_lo, exec_lo, s12
	v_mov_b32_e32 v22, v8
                                        ; implicit-def: $vgpr20
.LBB12_69:                              ;   in Loop: Header=BB12_31 Depth=1
	s_or_saveexec_b32 s4, s5
	v_mov_b32_e32 v23, 0
	s_xor_b32 exec_lo, exec_lo, s4
	s_cbranch_execz .LBB12_71
; %bb.70:                               ;   in Loop: Header=BB12_31 Depth=1
	s_clause 0x1
	buffer_load_dword v18, v8, s[0:3], 0 offen
	buffer_load_dword v19, v8, s[0:3], 0 offen offset:4
	v_add_nc_u32_e32 v23, -8, v20
.LBB12_71:                              ;   in Loop: Header=BB12_31 Depth=1
	s_or_b32 exec_lo, exec_lo, s4
	v_add_nc_u32_e32 v8, 8, v22
	s_mov_b32 s5, exec_lo
                                        ; implicit-def: $vgpr20_vgpr21
	v_cmpx_gt_u32_e32 8, v23
	s_xor_b32 s5, exec_lo, s5
	s_cbranch_execz .LBB12_77
; %bb.72:                               ;   in Loop: Header=BB12_31 Depth=1
	v_mov_b32_e32 v20, 0
	v_mov_b32_e32 v21, 0
	s_mov_b32 s12, exec_lo
	v_cmpx_ne_u32_e32 0, v23
	s_cbranch_execz .LBB12_76
; %bb.73:                               ;   in Loop: Header=BB12_31 Depth=1
	v_mov_b32_e32 v20, 0
	v_mov_b32_e32 v21, 0
	s_mov_b64 s[10:11], 0
	s_mov_b32 s13, 0
	s_mov_b32 s16, 0
	.p2align	6
.LBB12_74:                              ;   Parent Loop BB12_31 Depth=1
                                        ; =>  This Inner Loop Header: Depth=2
	v_add_nc_u32_e32 v8, s16, v22
	v_mov_b32_e32 v25, s15
	s_add_i32 s16, s16, 1
	v_cmp_eq_u32_e64 s4, s16, v23
	buffer_load_ubyte v8, v8, s[0:3], 0 offen
	s_waitcnt vmcnt(0)
	v_and_b32_e32 v24, 0xffff, v8
	v_lshlrev_b64 v[24:25], s10, v[24:25]
	s_add_u32 s10, s10, 8
	s_addc_u32 s11, s11, 0
	s_or_b32 s13, s4, s13
	v_or_b32_e32 v21, v25, v21
	v_or_b32_e32 v20, v24, v20
	s_andn2_b32 exec_lo, exec_lo, s13
	s_cbranch_execnz .LBB12_74
; %bb.75:                               ;   in Loop: Header=BB12_31 Depth=1
	s_or_b32 exec_lo, exec_lo, s13
.LBB12_76:                              ;   in Loop: Header=BB12_31 Depth=1
	s_or_b32 exec_lo, exec_lo, s12
	v_mov_b32_e32 v8, v22
                                        ; implicit-def: $vgpr23
.LBB12_77:                              ;   in Loop: Header=BB12_31 Depth=1
	s_or_saveexec_b32 s4, s5
	v_mov_b32_e32 v24, 0
	s_xor_b32 exec_lo, exec_lo, s4
	s_cbranch_execz .LBB12_79
; %bb.78:                               ;   in Loop: Header=BB12_31 Depth=1
	s_clause 0x1
	buffer_load_dword v20, v22, s[0:3], 0 offen
	buffer_load_dword v21, v22, s[0:3], 0 offen offset:4
	v_add_nc_u32_e32 v24, -8, v23
.LBB12_79:                              ;   in Loop: Header=BB12_31 Depth=1
	s_or_b32 exec_lo, exec_lo, s4
	s_mov_b32 s5, exec_lo
	v_cmpx_gt_u32_e32 8, v24
	s_xor_b32 s5, exec_lo, s5
	s_cbranch_execz .LBB12_85
; %bb.80:                               ;   in Loop: Header=BB12_31 Depth=1
	v_mov_b32_e32 v22, 0
	v_mov_b32_e32 v23, 0
	s_mov_b32 s12, exec_lo
	v_cmpx_ne_u32_e32 0, v24
	s_cbranch_execz .LBB12_84
; %bb.81:                               ;   in Loop: Header=BB12_31 Depth=1
	v_mov_b32_e32 v22, 0
	v_mov_b32_e32 v23, 0
	s_mov_b64 s[10:11], 0
	s_mov_b32 s13, 0
	.p2align	6
.LBB12_82:                              ;   Parent Loop BB12_31 Depth=1
                                        ; =>  This Inner Loop Header: Depth=2
	buffer_load_ubyte v25, v8, s[0:3], 0 offen
	v_mov_b32_e32 v26, s15
	v_add_nc_u32_e32 v24, -1, v24
	v_add_nc_u32_e32 v8, 1, v8
	v_cmp_eq_u32_e64 s4, 0, v24
	s_waitcnt vmcnt(0)
	v_and_b32_e32 v25, 0xffff, v25
	v_lshlrev_b64 v[25:26], s10, v[25:26]
	s_add_u32 s10, s10, 8
	s_addc_u32 s11, s11, 0
	s_or_b32 s13, s4, s13
	v_or_b32_e32 v23, v26, v23
	v_or_b32_e32 v22, v25, v22
	s_andn2_b32 exec_lo, exec_lo, s13
	s_cbranch_execnz .LBB12_82
; %bb.83:                               ;   in Loop: Header=BB12_31 Depth=1
	s_or_b32 exec_lo, exec_lo, s13
.LBB12_84:                              ;   in Loop: Header=BB12_31 Depth=1
	s_or_b32 exec_lo, exec_lo, s12
                                        ; implicit-def: $vgpr8
.LBB12_85:                              ;   in Loop: Header=BB12_31 Depth=1
	s_andn2_saveexec_b32 s4, s5
	s_cbranch_execz .LBB12_87
; %bb.86:                               ;   in Loop: Header=BB12_31 Depth=1
	s_clause 0x1
	buffer_load_dword v22, v8, s[0:3], 0 offen
	buffer_load_dword v23, v8, s[0:3], 0 offen offset:4
.LBB12_87:                              ;   in Loop: Header=BB12_31 Depth=1
	s_or_b32 exec_lo, exec_lo, s4
	v_readfirstlane_b32 s4, v32
	v_mov_b32_e32 v30, 0
	v_mov_b32_e32 v31, 0
	v_cmp_eq_u32_e64 s4, s4, v32
	s_and_saveexec_b32 s10, s4
	s_cbranch_execz .LBB12_93
; %bb.88:                               ;   in Loop: Header=BB12_31 Depth=1
	global_load_dwordx2 v[26:27], v9, s[6:7] offset:24 glc dlc
	s_waitcnt vmcnt(0)
	buffer_gl1_inv
	buffer_gl0_inv
	s_clause 0x1
	global_load_dwordx2 v[24:25], v9, s[6:7] offset:40
	global_load_dwordx2 v[30:31], v9, s[6:7]
	s_mov_b32 s11, exec_lo
	s_waitcnt vmcnt(1)
	v_and_b32_e32 v8, v25, v27
	v_and_b32_e32 v24, v24, v26
	v_mul_lo_u32 v8, v8, 24
	v_mul_hi_u32 v25, v24, 24
	v_mul_lo_u32 v24, v24, 24
	v_add_nc_u32_e32 v8, v25, v8
	s_waitcnt vmcnt(0)
	v_add_co_u32 v24, s5, v30, v24
	v_add_co_ci_u32_e64 v25, null, v31, v8, s5
	global_load_dwordx2 v[24:25], v[24:25], off glc dlc
	s_waitcnt vmcnt(0)
	global_atomic_cmpswap_x2 v[30:31], v9, v[24:27], s[6:7] offset:24 glc
	s_waitcnt vmcnt(0)
	buffer_gl1_inv
	buffer_gl0_inv
	v_cmpx_ne_u64_e64 v[30:31], v[26:27]
	s_cbranch_execz .LBB12_92
; %bb.89:                               ;   in Loop: Header=BB12_31 Depth=1
	s_mov_b32 s12, 0
	.p2align	6
.LBB12_90:                              ;   Parent Loop BB12_31 Depth=1
                                        ; =>  This Inner Loop Header: Depth=2
	s_sleep 1
	s_clause 0x1
	global_load_dwordx2 v[24:25], v9, s[6:7] offset:40
	global_load_dwordx2 v[37:38], v9, s[6:7]
	v_mov_b32_e32 v26, v30
	v_mov_b32_e32 v27, v31
	s_waitcnt vmcnt(1)
	v_and_b32_e32 v8, v24, v26
	v_and_b32_e32 v24, v25, v27
	s_waitcnt vmcnt(0)
	v_mad_u64_u32 v[30:31], null, v8, 24, v[37:38]
	v_mov_b32_e32 v8, v31
	v_mad_u64_u32 v[24:25], null, v24, 24, v[8:9]
	v_mov_b32_e32 v31, v24
	global_load_dwordx2 v[24:25], v[30:31], off glc dlc
	s_waitcnt vmcnt(0)
	global_atomic_cmpswap_x2 v[30:31], v9, v[24:27], s[6:7] offset:24 glc
	s_waitcnt vmcnt(0)
	buffer_gl1_inv
	buffer_gl0_inv
	v_cmp_eq_u64_e64 s5, v[30:31], v[26:27]
	s_or_b32 s12, s5, s12
	s_andn2_b32 exec_lo, exec_lo, s12
	s_cbranch_execnz .LBB12_90
; %bb.91:                               ;   in Loop: Header=BB12_31 Depth=1
	s_or_b32 exec_lo, exec_lo, s12
.LBB12_92:                              ;   in Loop: Header=BB12_31 Depth=1
	s_or_b32 exec_lo, exec_lo, s11
.LBB12_93:                              ;   in Loop: Header=BB12_31 Depth=1
	s_or_b32 exec_lo, exec_lo, s10
	s_clause 0x1
	global_load_dwordx2 v[37:38], v9, s[6:7] offset:40
	global_load_dwordx4 v[24:27], v9, s[6:7]
	v_readfirstlane_b32 s11, v31
	v_readfirstlane_b32 s10, v30
	s_mov_b32 s16, exec_lo
	s_waitcnt vmcnt(1)
	v_readfirstlane_b32 s12, v37
	v_readfirstlane_b32 s13, v38
	s_and_b64 s[12:13], s[12:13], s[10:11]
	s_mul_i32 s5, s13, 24
	s_mul_hi_u32 s17, s12, 24
	s_mul_i32 s18, s12, 24
	s_add_i32 s17, s17, s5
	s_waitcnt vmcnt(0)
	v_add_co_u32 v30, s5, v24, s18
	v_add_co_ci_u32_e64 v31, null, s17, v25, s5
	s_and_saveexec_b32 s5, s4
	s_cbranch_execz .LBB12_95
; %bb.94:                               ;   in Loop: Header=BB12_31 Depth=1
	v_mov_b32_e32 v8, s16
	global_store_dwordx4 v[30:31], v[8:11], off offset:8
.LBB12_95:                              ;   in Loop: Header=BB12_31 Depth=1
	s_or_b32 exec_lo, exec_lo, s5
	v_cmp_gt_u64_e64 s5, 57, v[28:29]
	v_and_b32_e32 v0, 0xffffff1f, v0
	s_lshl_b64 s[12:13], s[12:13], 12
	v_cndmask_b32_e64 v8, 0, v34, s5
	v_add_co_u32 v37, s5, v26, s12
	v_add_co_ci_u32_e64 v27, null, s13, v27, s5
	v_lshl_add_u32 v26, v36, 2, 28
	v_or_b32_e32 v0, v0, v8
	v_readfirstlane_b32 s12, v37
	v_readfirstlane_b32 s13, v27
	v_and_or_b32 v0, 0x1e0, v26, v0
	v_cndmask_b32_e32 v26, 0, v29, vcc_lo
	global_store_dwordx4 v33, v[12:15], s[12:13] offset:16
	global_store_dwordx4 v33, v[0:3], s[12:13]
	global_store_dwordx4 v33, v[16:19], s[12:13] offset:32
	global_store_dwordx4 v33, v[20:23], s[12:13] offset:48
	s_and_saveexec_b32 s5, s4
	s_cbranch_execz .LBB12_103
; %bb.96:                               ;   in Loop: Header=BB12_31 Depth=1
	s_clause 0x1
	global_load_dwordx2 v[16:17], v9, s[6:7] offset:32 glc dlc
	global_load_dwordx2 v[0:1], v9, s[6:7] offset:40
	v_mov_b32_e32 v14, s10
	v_mov_b32_e32 v15, s11
	s_waitcnt vmcnt(0)
	v_readfirstlane_b32 s12, v0
	v_readfirstlane_b32 s13, v1
	s_and_b64 s[12:13], s[12:13], s[10:11]
	s_mul_i32 s13, s13, 24
	s_mul_hi_u32 s16, s12, 24
	s_mul_i32 s12, s12, 24
	s_add_i32 s16, s16, s13
	v_add_co_u32 v12, vcc_lo, v24, s12
	v_add_co_ci_u32_e64 v13, null, s16, v25, vcc_lo
	s_mov_b32 s12, exec_lo
	global_store_dwordx2 v[12:13], v[16:17], off
	s_waitcnt_vscnt null, 0x0
	global_atomic_cmpswap_x2 v[2:3], v9, v[14:17], s[6:7] offset:32 glc
	s_waitcnt vmcnt(0)
	v_cmpx_ne_u64_e64 v[2:3], v[16:17]
	s_cbranch_execz .LBB12_99
; %bb.97:                               ;   in Loop: Header=BB12_31 Depth=1
	s_mov_b32 s13, 0
.LBB12_98:                              ;   Parent Loop BB12_31 Depth=1
                                        ; =>  This Inner Loop Header: Depth=2
	v_mov_b32_e32 v0, s10
	v_mov_b32_e32 v1, s11
	s_sleep 1
	global_store_dwordx2 v[12:13], v[2:3], off
	s_waitcnt_vscnt null, 0x0
	global_atomic_cmpswap_x2 v[0:1], v9, v[0:3], s[6:7] offset:32 glc
	s_waitcnt vmcnt(0)
	v_cmp_eq_u64_e32 vcc_lo, v[0:1], v[2:3]
	v_mov_b32_e32 v3, v1
	v_mov_b32_e32 v2, v0
	s_or_b32 s13, vcc_lo, s13
	s_andn2_b32 exec_lo, exec_lo, s13
	s_cbranch_execnz .LBB12_98
.LBB12_99:                              ;   in Loop: Header=BB12_31 Depth=1
	s_or_b32 exec_lo, exec_lo, s12
	global_load_dwordx2 v[0:1], v9, s[6:7] offset:16
	s_mov_b32 s13, exec_lo
	s_mov_b32 s12, exec_lo
	v_mbcnt_lo_u32_b32 v2, s13, 0
	v_cmpx_eq_u32_e32 0, v2
	s_cbranch_execz .LBB12_101
; %bb.100:                              ;   in Loop: Header=BB12_31 Depth=1
	s_bcnt1_i32_b32 s13, s13
	v_mov_b32_e32 v8, s13
	s_waitcnt vmcnt(0)
	global_atomic_add_x2 v[0:1], v[8:9], off offset:8
.LBB12_101:                             ;   in Loop: Header=BB12_31 Depth=1
	s_or_b32 exec_lo, exec_lo, s12
	s_waitcnt vmcnt(0)
	global_load_dwordx2 v[2:3], v[0:1], off offset:16
	s_waitcnt vmcnt(0)
	v_cmp_eq_u64_e32 vcc_lo, 0, v[2:3]
	s_cbranch_vccnz .LBB12_103
; %bb.102:                              ;   in Loop: Header=BB12_31 Depth=1
	global_load_dword v8, v[0:1], off offset:24
	s_waitcnt vmcnt(0)
	v_readfirstlane_b32 s12, v8
	s_waitcnt_vscnt null, 0x0
	global_store_dwordx2 v[2:3], v[8:9], off
	s_and_b32 m0, s12, 0x7fffff
	s_sendmsg sendmsg(MSG_INTERRUPT)
.LBB12_103:                             ;   in Loop: Header=BB12_31 Depth=1
	s_or_b32 exec_lo, exec_lo, s5
	v_add_co_u32 v0, vcc_lo, v37, v33
	v_add_co_ci_u32_e64 v1, null, 0, v27, vcc_lo
	s_branch .LBB12_107
	.p2align	6
.LBB12_104:                             ;   in Loop: Header=BB12_107 Depth=2
	s_or_b32 exec_lo, exec_lo, s5
	v_readfirstlane_b32 s5, v2
	s_cmp_eq_u32 s5, 0
	s_cbranch_scc1 .LBB12_106
; %bb.105:                              ;   in Loop: Header=BB12_107 Depth=2
	s_sleep 1
	s_cbranch_execnz .LBB12_107
	s_branch .LBB12_109
	.p2align	6
.LBB12_106:                             ;   in Loop: Header=BB12_31 Depth=1
	s_branch .LBB12_109
.LBB12_107:                             ;   Parent Loop BB12_31 Depth=1
                                        ; =>  This Inner Loop Header: Depth=2
	v_mov_b32_e32 v2, 1
	s_and_saveexec_b32 s5, s4
	s_cbranch_execz .LBB12_104
; %bb.108:                              ;   in Loop: Header=BB12_107 Depth=2
	global_load_dword v2, v[30:31], off offset:20 glc dlc
	s_waitcnt vmcnt(0)
	buffer_gl1_inv
	buffer_gl0_inv
	v_and_b32_e32 v2, 1, v2
	s_branch .LBB12_104
.LBB12_109:                             ;   in Loop: Header=BB12_31 Depth=1
	global_load_dwordx2 v[0:1], v[0:1], off
	s_and_saveexec_b32 s12, s4
	s_cbranch_execz .LBB12_30
; %bb.110:                              ;   in Loop: Header=BB12_31 Depth=1
	s_clause 0x2
	global_load_dwordx2 v[2:3], v9, s[6:7] offset:40
	global_load_dwordx2 v[16:17], v9, s[6:7] offset:24 glc dlc
	global_load_dwordx2 v[12:13], v9, s[6:7]
	s_waitcnt vmcnt(2)
	v_readfirstlane_b32 s16, v2
	v_readfirstlane_b32 s17, v3
	s_add_u32 s13, s16, 1
	s_addc_u32 s18, s17, 0
	s_add_u32 s4, s13, s10
	s_addc_u32 s5, s18, s11
	s_cmp_eq_u64 s[4:5], 0
	s_cselect_b32 s5, s18, s5
	s_cselect_b32 s4, s13, s4
	v_mov_b32_e32 v15, s5
	s_and_b64 s[10:11], s[4:5], s[16:17]
	v_mov_b32_e32 v14, s4
	s_mul_i32 s11, s11, 24
	s_mul_hi_u32 s13, s10, 24
	s_mul_i32 s10, s10, 24
	s_add_i32 s13, s13, s11
	s_waitcnt vmcnt(0)
	v_add_co_u32 v2, vcc_lo, v12, s10
	v_add_co_ci_u32_e64 v3, null, s13, v13, vcc_lo
	global_store_dwordx2 v[2:3], v[16:17], off
	s_waitcnt_vscnt null, 0x0
	global_atomic_cmpswap_x2 v[14:15], v9, v[14:17], s[6:7] offset:24 glc
	s_waitcnt vmcnt(0)
	v_cmp_ne_u64_e32 vcc_lo, v[14:15], v[16:17]
	s_and_b32 exec_lo, exec_lo, vcc_lo
	s_cbranch_execz .LBB12_30
; %bb.111:                              ;   in Loop: Header=BB12_31 Depth=1
	s_mov_b32 s10, 0
.LBB12_112:                             ;   Parent Loop BB12_31 Depth=1
                                        ; =>  This Inner Loop Header: Depth=2
	v_mov_b32_e32 v12, s4
	v_mov_b32_e32 v13, s5
	s_sleep 1
	global_store_dwordx2 v[2:3], v[14:15], off
	s_waitcnt_vscnt null, 0x0
	global_atomic_cmpswap_x2 v[12:13], v9, v[12:15], s[6:7] offset:24 glc
	s_waitcnt vmcnt(0)
	v_cmp_eq_u64_e32 vcc_lo, v[12:13], v[14:15]
	v_mov_b32_e32 v15, v13
	v_mov_b32_e32 v14, v12
	s_or_b32 s10, vcc_lo, s10
	s_andn2_b32 exec_lo, exec_lo, s10
	s_cbranch_execnz .LBB12_112
	s_branch .LBB12_30
.LBB12_113:
                                        ; implicit-def: $vgpr0_vgpr1
	s_cbranch_execnz .LBB12_115
	s_branch .LBB12_142
.LBB12_114:
	s_or_b32 exec_lo, exec_lo, s14
	s_branch .LBB12_142
.LBB12_115:
	v_readfirstlane_b32 s4, v32
	v_mov_b32_e32 v9, 0
	v_mov_b32_e32 v10, 0
	v_cmp_eq_u32_e64 s4, s4, v32
	s_and_saveexec_b32 s5, s4
	s_cbranch_execz .LBB12_121
; %bb.116:
	s_waitcnt vmcnt(0)
	v_mov_b32_e32 v0, 0
	s_mov_b32 s10, exec_lo
	global_load_dwordx2 v[11:12], v0, s[6:7] offset:24 glc dlc
	s_waitcnt vmcnt(0)
	buffer_gl1_inv
	buffer_gl0_inv
	s_clause 0x1
	global_load_dwordx2 v[1:2], v0, s[6:7] offset:40
	global_load_dwordx2 v[8:9], v0, s[6:7]
	s_waitcnt vmcnt(1)
	v_and_b32_e32 v2, v2, v12
	v_and_b32_e32 v1, v1, v11
	v_mul_lo_u32 v2, v2, 24
	v_mul_hi_u32 v3, v1, 24
	v_mul_lo_u32 v1, v1, 24
	v_add_nc_u32_e32 v2, v3, v2
	s_waitcnt vmcnt(0)
	v_add_co_u32 v1, vcc_lo, v8, v1
	v_add_co_ci_u32_e64 v2, null, v9, v2, vcc_lo
	global_load_dwordx2 v[9:10], v[1:2], off glc dlc
	s_waitcnt vmcnt(0)
	global_atomic_cmpswap_x2 v[9:10], v0, v[9:12], s[6:7] offset:24 glc
	s_waitcnt vmcnt(0)
	buffer_gl1_inv
	buffer_gl0_inv
	v_cmpx_ne_u64_e64 v[9:10], v[11:12]
	s_cbranch_execz .LBB12_120
; %bb.117:
	s_mov_b32 s11, 0
	.p2align	6
.LBB12_118:                             ; =>This Inner Loop Header: Depth=1
	s_sleep 1
	s_clause 0x1
	global_load_dwordx2 v[1:2], v0, s[6:7] offset:40
	global_load_dwordx2 v[13:14], v0, s[6:7]
	v_mov_b32_e32 v12, v10
	v_mov_b32_e32 v11, v9
	s_waitcnt vmcnt(1)
	v_and_b32_e32 v1, v1, v11
	v_and_b32_e32 v2, v2, v12
	s_waitcnt vmcnt(0)
	v_mad_u64_u32 v[8:9], null, v1, 24, v[13:14]
	v_mov_b32_e32 v1, v9
	v_mad_u64_u32 v[1:2], null, v2, 24, v[1:2]
	v_mov_b32_e32 v9, v1
	global_load_dwordx2 v[9:10], v[8:9], off glc dlc
	s_waitcnt vmcnt(0)
	global_atomic_cmpswap_x2 v[9:10], v0, v[9:12], s[6:7] offset:24 glc
	s_waitcnt vmcnt(0)
	buffer_gl1_inv
	buffer_gl0_inv
	v_cmp_eq_u64_e32 vcc_lo, v[9:10], v[11:12]
	s_or_b32 s11, vcc_lo, s11
	s_andn2_b32 exec_lo, exec_lo, s11
	s_cbranch_execnz .LBB12_118
; %bb.119:
	s_or_b32 exec_lo, exec_lo, s11
.LBB12_120:
	s_or_b32 exec_lo, exec_lo, s10
.LBB12_121:
	s_or_b32 exec_lo, exec_lo, s5
	v_mov_b32_e32 v8, 0
	v_readfirstlane_b32 s11, v10
	v_readfirstlane_b32 s10, v9
	s_mov_b32 s5, exec_lo
	s_clause 0x1
	global_load_dwordx2 v[11:12], v8, s[6:7] offset:40
	global_load_dwordx4 v[0:3], v8, s[6:7]
	s_waitcnt vmcnt(1)
	v_readfirstlane_b32 s12, v11
	v_readfirstlane_b32 s13, v12
	s_and_b64 s[12:13], s[12:13], s[10:11]
	s_mul_i32 s14, s13, 24
	s_mul_hi_u32 s15, s12, 24
	s_mul_i32 s16, s12, 24
	s_add_i32 s15, s15, s14
	s_waitcnt vmcnt(0)
	v_add_co_u32 v10, vcc_lo, v0, s16
	v_add_co_ci_u32_e64 v11, null, s15, v1, vcc_lo
	s_and_saveexec_b32 s14, s4
	s_cbranch_execz .LBB12_123
; %bb.122:
	v_mov_b32_e32 v12, s5
	v_mov_b32_e32 v13, v8
	;; [unrolled: 1-line block ×4, first 2 shown]
	global_store_dwordx4 v[10:11], v[12:15], off offset:8
.LBB12_123:
	s_or_b32 exec_lo, exec_lo, s14
	s_lshl_b64 s[12:13], s[12:13], 12
	v_and_or_b32 v6, 0xffffff1f, v6, 32
	v_add_co_u32 v2, vcc_lo, v2, s12
	v_add_co_ci_u32_e64 v3, null, s13, v3, vcc_lo
	s_mov_b32 s12, 0
	v_add_co_u32 v12, vcc_lo, v2, v33
	s_mov_b32 s15, s12
	s_mov_b32 s13, s12
	;; [unrolled: 1-line block ×3, first 2 shown]
	v_mov_b32_e32 v9, v8
	v_readfirstlane_b32 s16, v2
	v_readfirstlane_b32 s17, v3
	v_mov_b32_e32 v17, s15
	v_add_co_ci_u32_e64 v13, null, 0, v3, vcc_lo
	v_mov_b32_e32 v16, s14
	v_mov_b32_e32 v15, s13
	;; [unrolled: 1-line block ×3, first 2 shown]
	global_store_dwordx4 v33, v[6:9], s[16:17]
	global_store_dwordx4 v33, v[14:17], s[16:17] offset:16
	global_store_dwordx4 v33, v[14:17], s[16:17] offset:32
	;; [unrolled: 1-line block ×3, first 2 shown]
	s_and_saveexec_b32 s5, s4
	s_cbranch_execz .LBB12_131
; %bb.124:
	v_mov_b32_e32 v8, 0
	v_mov_b32_e32 v14, s10
	;; [unrolled: 1-line block ×3, first 2 shown]
	s_clause 0x1
	global_load_dwordx2 v[16:17], v8, s[6:7] offset:32 glc dlc
	global_load_dwordx2 v[2:3], v8, s[6:7] offset:40
	s_waitcnt vmcnt(0)
	v_readfirstlane_b32 s12, v2
	v_readfirstlane_b32 s13, v3
	s_and_b64 s[12:13], s[12:13], s[10:11]
	s_mul_i32 s13, s13, 24
	s_mul_hi_u32 s14, s12, 24
	s_mul_i32 s12, s12, 24
	s_add_i32 s14, s14, s13
	v_add_co_u32 v6, vcc_lo, v0, s12
	v_add_co_ci_u32_e64 v7, null, s14, v1, vcc_lo
	s_mov_b32 s12, exec_lo
	global_store_dwordx2 v[6:7], v[16:17], off
	s_waitcnt_vscnt null, 0x0
	global_atomic_cmpswap_x2 v[2:3], v8, v[14:17], s[6:7] offset:32 glc
	s_waitcnt vmcnt(0)
	v_cmpx_ne_u64_e64 v[2:3], v[16:17]
	s_cbranch_execz .LBB12_127
; %bb.125:
	s_mov_b32 s13, 0
.LBB12_126:                             ; =>This Inner Loop Header: Depth=1
	v_mov_b32_e32 v0, s10
	v_mov_b32_e32 v1, s11
	s_sleep 1
	global_store_dwordx2 v[6:7], v[2:3], off
	s_waitcnt_vscnt null, 0x0
	global_atomic_cmpswap_x2 v[0:1], v8, v[0:3], s[6:7] offset:32 glc
	s_waitcnt vmcnt(0)
	v_cmp_eq_u64_e32 vcc_lo, v[0:1], v[2:3]
	v_mov_b32_e32 v3, v1
	v_mov_b32_e32 v2, v0
	s_or_b32 s13, vcc_lo, s13
	s_andn2_b32 exec_lo, exec_lo, s13
	s_cbranch_execnz .LBB12_126
.LBB12_127:
	s_or_b32 exec_lo, exec_lo, s12
	v_mov_b32_e32 v3, 0
	s_mov_b32 s13, exec_lo
	s_mov_b32 s12, exec_lo
	v_mbcnt_lo_u32_b32 v2, s13, 0
	global_load_dwordx2 v[0:1], v3, s[6:7] offset:16
	v_cmpx_eq_u32_e32 0, v2
	s_cbranch_execz .LBB12_129
; %bb.128:
	s_bcnt1_i32_b32 s13, s13
	v_mov_b32_e32 v2, s13
	s_waitcnt vmcnt(0)
	global_atomic_add_x2 v[0:1], v[2:3], off offset:8
.LBB12_129:
	s_or_b32 exec_lo, exec_lo, s12
	s_waitcnt vmcnt(0)
	global_load_dwordx2 v[2:3], v[0:1], off offset:16
	s_waitcnt vmcnt(0)
	v_cmp_eq_u64_e32 vcc_lo, 0, v[2:3]
	s_cbranch_vccnz .LBB12_131
; %bb.130:
	global_load_dword v0, v[0:1], off offset:24
	v_mov_b32_e32 v1, 0
	s_waitcnt vmcnt(0)
	v_readfirstlane_b32 s12, v0
	s_waitcnt_vscnt null, 0x0
	global_store_dwordx2 v[2:3], v[0:1], off
	s_and_b32 m0, s12, 0x7fffff
	s_sendmsg sendmsg(MSG_INTERRUPT)
.LBB12_131:
	s_or_b32 exec_lo, exec_lo, s5
	s_branch .LBB12_135
	.p2align	6
.LBB12_132:                             ;   in Loop: Header=BB12_135 Depth=1
	s_or_b32 exec_lo, exec_lo, s5
	v_readfirstlane_b32 s5, v0
	s_cmp_eq_u32 s5, 0
	s_cbranch_scc1 .LBB12_134
; %bb.133:                              ;   in Loop: Header=BB12_135 Depth=1
	s_sleep 1
	s_cbranch_execnz .LBB12_135
	s_branch .LBB12_137
	.p2align	6
.LBB12_134:
	s_branch .LBB12_137
.LBB12_135:                             ; =>This Inner Loop Header: Depth=1
	v_mov_b32_e32 v0, 1
	s_and_saveexec_b32 s5, s4
	s_cbranch_execz .LBB12_132
; %bb.136:                              ;   in Loop: Header=BB12_135 Depth=1
	global_load_dword v0, v[10:11], off offset:20 glc dlc
	s_waitcnt vmcnt(0)
	buffer_gl1_inv
	buffer_gl0_inv
	v_and_b32_e32 v0, 1, v0
	s_branch .LBB12_132
.LBB12_137:
	global_load_dwordx2 v[0:1], v[12:13], off
	s_and_saveexec_b32 s12, s4
	s_cbranch_execz .LBB12_141
; %bb.138:
	v_mov_b32_e32 v10, 0
	s_clause 0x2
	global_load_dwordx2 v[2:3], v10, s[6:7] offset:40
	global_load_dwordx2 v[13:14], v10, s[6:7] offset:24 glc dlc
	global_load_dwordx2 v[6:7], v10, s[6:7]
	s_waitcnt vmcnt(2)
	v_readfirstlane_b32 s14, v2
	v_readfirstlane_b32 s15, v3
	s_add_u32 s13, s14, 1
	s_addc_u32 s16, s15, 0
	s_add_u32 s4, s13, s10
	s_addc_u32 s5, s16, s11
	s_cmp_eq_u64 s[4:5], 0
	s_cselect_b32 s5, s16, s5
	s_cselect_b32 s4, s13, s4
	v_mov_b32_e32 v12, s5
	s_and_b64 s[10:11], s[4:5], s[14:15]
	v_mov_b32_e32 v11, s4
	s_mul_i32 s11, s11, 24
	s_mul_hi_u32 s13, s10, 24
	s_mul_i32 s10, s10, 24
	s_add_i32 s13, s13, s11
	s_waitcnt vmcnt(0)
	v_add_co_u32 v2, vcc_lo, v6, s10
	v_add_co_ci_u32_e64 v3, null, s13, v7, vcc_lo
	global_store_dwordx2 v[2:3], v[13:14], off
	s_waitcnt_vscnt null, 0x0
	global_atomic_cmpswap_x2 v[8:9], v10, v[11:14], s[6:7] offset:24 glc
	s_waitcnt vmcnt(0)
	v_cmp_ne_u64_e32 vcc_lo, v[8:9], v[13:14]
	s_and_b32 exec_lo, exec_lo, vcc_lo
	s_cbranch_execz .LBB12_141
; %bb.139:
	s_mov_b32 s10, 0
.LBB12_140:                             ; =>This Inner Loop Header: Depth=1
	v_mov_b32_e32 v6, s4
	v_mov_b32_e32 v7, s5
	s_sleep 1
	global_store_dwordx2 v[2:3], v[8:9], off
	s_waitcnt_vscnt null, 0x0
	global_atomic_cmpswap_x2 v[6:7], v10, v[6:9], s[6:7] offset:24 glc
	s_waitcnt vmcnt(0)
	v_cmp_eq_u64_e32 vcc_lo, v[6:7], v[8:9]
	v_mov_b32_e32 v9, v7
	v_mov_b32_e32 v8, v6
	s_or_b32 s10, vcc_lo, s10
	s_andn2_b32 exec_lo, exec_lo, s10
	s_cbranch_execnz .LBB12_140
.LBB12_141:
	s_or_b32 exec_lo, exec_lo, s12
.LBB12_142:
	s_getpc_b64 s[10:11]
	s_add_u32 s10, s10, .str.6@rel32@lo+4
	s_addc_u32 s11, s11, .str.6@rel32@hi+12
	s_cmp_lg_u64 s[10:11], 0
	s_cbranch_scc0 .LBB12_220
; %bb.143:
	s_getpc_b64 s[4:5]
	s_add_u32 s4, s4, .str.6@rel32@lo+95
	s_addc_u32 s5, s5, .str.6@rel32@hi+103
	s_waitcnt vmcnt(0)
	v_and_b32_e32 v30, 2, v0
	v_mov_b32_e32 v11, 0
	v_and_b32_e32 v6, -3, v0
	v_mov_b32_e32 v7, v1
	v_mov_b32_e32 v12, 2
	;; [unrolled: 1-line block ×3, first 2 shown]
	s_sub_i32 s12, s4, s10
	s_ashr_i32 s13, s12, 31
	s_branch .LBB12_145
.LBB12_144:                             ;   in Loop: Header=BB12_145 Depth=1
	s_or_b32 exec_lo, exec_lo, s18
	s_sub_u32 s12, s12, s14
	s_subb_u32 s13, s13, s15
	s_add_u32 s10, s10, s14
	s_addc_u32 s11, s11, s15
	s_cmp_lg_u64 s[12:13], 0
	s_cbranch_scc0 .LBB12_221
.LBB12_145:                             ; =>This Loop Header: Depth=1
                                        ;     Child Loop BB12_148 Depth 2
                                        ;     Child Loop BB12_155 Depth 2
	;; [unrolled: 1-line block ×11, first 2 shown]
	v_cmp_lt_u64_e64 s4, s[12:13], 56
	v_cmp_gt_u64_e64 s16, s[12:13], 7
	s_and_b32 s4, s4, exec_lo
	s_cselect_b32 s15, s13, 0
	s_cselect_b32 s14, s12, 56
	s_add_u32 s4, s10, 8
	s_addc_u32 s5, s11, 0
	s_and_b32 vcc_lo, exec_lo, s16
	s_cbranch_vccnz .LBB12_150
; %bb.146:                              ;   in Loop: Header=BB12_145 Depth=1
	v_mov_b32_e32 v8, 0
	v_mov_b32_e32 v9, 0
	s_cmp_eq_u64 s[12:13], 0
	s_cbranch_scc1 .LBB12_149
; %bb.147:                              ;   in Loop: Header=BB12_145 Depth=1
	s_lshl_b64 s[4:5], s[14:15], 3
	s_mov_b64 s[16:17], 0
	s_mov_b64 s[18:19], s[10:11]
.LBB12_148:                             ;   Parent Loop BB12_145 Depth=1
                                        ; =>  This Inner Loop Header: Depth=2
	global_load_ubyte v2, v11, s[18:19]
	s_waitcnt vmcnt(0)
	v_and_b32_e32 v10, 0xffff, v2
	v_lshlrev_b64 v[2:3], s16, v[10:11]
	s_add_u32 s16, s16, 8
	s_addc_u32 s17, s17, 0
	s_add_u32 s18, s18, 1
	s_addc_u32 s19, s19, 0
	s_cmp_lg_u32 s4, s16
	v_or_b32_e32 v8, v2, v8
	v_or_b32_e32 v9, v3, v9
	s_cbranch_scc1 .LBB12_148
.LBB12_149:                             ;   in Loop: Header=BB12_145 Depth=1
	s_mov_b64 s[4:5], s[10:11]
	s_mov_b32 s20, 0
	s_cbranch_execz .LBB12_151
	s_branch .LBB12_152
.LBB12_150:                             ;   in Loop: Header=BB12_145 Depth=1
	s_mov_b32 s20, 0
.LBB12_151:                             ;   in Loop: Header=BB12_145 Depth=1
	global_load_dwordx2 v[8:9], v11, s[10:11]
	s_add_i32 s20, s14, -8
.LBB12_152:                             ;   in Loop: Header=BB12_145 Depth=1
	s_add_u32 s16, s4, 8
	s_addc_u32 s17, s5, 0
	s_cmp_gt_u32 s20, 7
	s_cbranch_scc1 .LBB12_157
; %bb.153:                              ;   in Loop: Header=BB12_145 Depth=1
	v_mov_b32_e32 v14, 0
	v_mov_b32_e32 v15, 0
	s_cmp_eq_u32 s20, 0
	s_cbranch_scc1 .LBB12_156
; %bb.154:                              ;   in Loop: Header=BB12_145 Depth=1
	s_mov_b64 s[16:17], 0
	s_mov_b64 s[18:19], 0
.LBB12_155:                             ;   Parent Loop BB12_145 Depth=1
                                        ; =>  This Inner Loop Header: Depth=2
	s_add_u32 s22, s4, s18
	s_addc_u32 s23, s5, s19
	s_add_u32 s18, s18, 1
	global_load_ubyte v2, v11, s[22:23]
	s_addc_u32 s19, s19, 0
	s_waitcnt vmcnt(0)
	v_and_b32_e32 v10, 0xffff, v2
	v_lshlrev_b64 v[2:3], s16, v[10:11]
	s_add_u32 s16, s16, 8
	s_addc_u32 s17, s17, 0
	s_cmp_lg_u32 s20, s18
	v_or_b32_e32 v14, v2, v14
	v_or_b32_e32 v15, v3, v15
	s_cbranch_scc1 .LBB12_155
.LBB12_156:                             ;   in Loop: Header=BB12_145 Depth=1
	s_mov_b64 s[16:17], s[4:5]
	s_mov_b32 s21, 0
	s_cbranch_execz .LBB12_158
	s_branch .LBB12_159
.LBB12_157:                             ;   in Loop: Header=BB12_145 Depth=1
                                        ; implicit-def: $vgpr14_vgpr15
	s_mov_b32 s21, 0
.LBB12_158:                             ;   in Loop: Header=BB12_145 Depth=1
	global_load_dwordx2 v[14:15], v11, s[4:5]
	s_add_i32 s21, s20, -8
.LBB12_159:                             ;   in Loop: Header=BB12_145 Depth=1
	s_add_u32 s4, s16, 8
	s_addc_u32 s5, s17, 0
	s_cmp_gt_u32 s21, 7
	s_cbranch_scc1 .LBB12_164
; %bb.160:                              ;   in Loop: Header=BB12_145 Depth=1
	v_mov_b32_e32 v16, 0
	v_mov_b32_e32 v17, 0
	s_cmp_eq_u32 s21, 0
	s_cbranch_scc1 .LBB12_163
; %bb.161:                              ;   in Loop: Header=BB12_145 Depth=1
	s_mov_b64 s[4:5], 0
	s_mov_b64 s[18:19], 0
.LBB12_162:                             ;   Parent Loop BB12_145 Depth=1
                                        ; =>  This Inner Loop Header: Depth=2
	s_add_u32 s22, s16, s18
	s_addc_u32 s23, s17, s19
	s_add_u32 s18, s18, 1
	global_load_ubyte v2, v11, s[22:23]
	s_addc_u32 s19, s19, 0
	s_waitcnt vmcnt(0)
	v_and_b32_e32 v10, 0xffff, v2
	v_lshlrev_b64 v[2:3], s4, v[10:11]
	s_add_u32 s4, s4, 8
	s_addc_u32 s5, s5, 0
	s_cmp_lg_u32 s21, s18
	v_or_b32_e32 v16, v2, v16
	v_or_b32_e32 v17, v3, v17
	s_cbranch_scc1 .LBB12_162
.LBB12_163:                             ;   in Loop: Header=BB12_145 Depth=1
	s_mov_b64 s[4:5], s[16:17]
	s_mov_b32 s20, 0
	s_cbranch_execz .LBB12_165
	s_branch .LBB12_166
.LBB12_164:                             ;   in Loop: Header=BB12_145 Depth=1
	s_mov_b32 s20, 0
.LBB12_165:                             ;   in Loop: Header=BB12_145 Depth=1
	global_load_dwordx2 v[16:17], v11, s[16:17]
	s_add_i32 s20, s21, -8
.LBB12_166:                             ;   in Loop: Header=BB12_145 Depth=1
	s_add_u32 s16, s4, 8
	s_addc_u32 s17, s5, 0
	s_cmp_gt_u32 s20, 7
	s_cbranch_scc1 .LBB12_171
; %bb.167:                              ;   in Loop: Header=BB12_145 Depth=1
	v_mov_b32_e32 v18, 0
	v_mov_b32_e32 v19, 0
	s_cmp_eq_u32 s20, 0
	s_cbranch_scc1 .LBB12_170
; %bb.168:                              ;   in Loop: Header=BB12_145 Depth=1
	s_mov_b64 s[16:17], 0
	s_mov_b64 s[18:19], 0
.LBB12_169:                             ;   Parent Loop BB12_145 Depth=1
                                        ; =>  This Inner Loop Header: Depth=2
	s_add_u32 s22, s4, s18
	s_addc_u32 s23, s5, s19
	s_add_u32 s18, s18, 1
	global_load_ubyte v2, v11, s[22:23]
	s_addc_u32 s19, s19, 0
	s_waitcnt vmcnt(0)
	v_and_b32_e32 v10, 0xffff, v2
	v_lshlrev_b64 v[2:3], s16, v[10:11]
	s_add_u32 s16, s16, 8
	s_addc_u32 s17, s17, 0
	s_cmp_lg_u32 s20, s18
	v_or_b32_e32 v18, v2, v18
	v_or_b32_e32 v19, v3, v19
	s_cbranch_scc1 .LBB12_169
.LBB12_170:                             ;   in Loop: Header=BB12_145 Depth=1
	s_mov_b64 s[16:17], s[4:5]
	s_mov_b32 s21, 0
	s_cbranch_execz .LBB12_172
	s_branch .LBB12_173
.LBB12_171:                             ;   in Loop: Header=BB12_145 Depth=1
                                        ; implicit-def: $vgpr18_vgpr19
	s_mov_b32 s21, 0
.LBB12_172:                             ;   in Loop: Header=BB12_145 Depth=1
	global_load_dwordx2 v[18:19], v11, s[4:5]
	s_add_i32 s21, s20, -8
.LBB12_173:                             ;   in Loop: Header=BB12_145 Depth=1
	s_add_u32 s4, s16, 8
	s_addc_u32 s5, s17, 0
	s_cmp_gt_u32 s21, 7
	s_cbranch_scc1 .LBB12_178
; %bb.174:                              ;   in Loop: Header=BB12_145 Depth=1
	v_mov_b32_e32 v20, 0
	v_mov_b32_e32 v21, 0
	s_cmp_eq_u32 s21, 0
	s_cbranch_scc1 .LBB12_177
; %bb.175:                              ;   in Loop: Header=BB12_145 Depth=1
	s_mov_b64 s[4:5], 0
	s_mov_b64 s[18:19], 0
.LBB12_176:                             ;   Parent Loop BB12_145 Depth=1
                                        ; =>  This Inner Loop Header: Depth=2
	s_add_u32 s22, s16, s18
	s_addc_u32 s23, s17, s19
	s_add_u32 s18, s18, 1
	global_load_ubyte v2, v11, s[22:23]
	s_addc_u32 s19, s19, 0
	s_waitcnt vmcnt(0)
	v_and_b32_e32 v10, 0xffff, v2
	v_lshlrev_b64 v[2:3], s4, v[10:11]
	s_add_u32 s4, s4, 8
	s_addc_u32 s5, s5, 0
	s_cmp_lg_u32 s21, s18
	v_or_b32_e32 v20, v2, v20
	v_or_b32_e32 v21, v3, v21
	s_cbranch_scc1 .LBB12_176
.LBB12_177:                             ;   in Loop: Header=BB12_145 Depth=1
	s_mov_b64 s[4:5], s[16:17]
	s_mov_b32 s20, 0
	s_cbranch_execz .LBB12_179
	s_branch .LBB12_180
.LBB12_178:                             ;   in Loop: Header=BB12_145 Depth=1
	s_mov_b32 s20, 0
.LBB12_179:                             ;   in Loop: Header=BB12_145 Depth=1
	global_load_dwordx2 v[20:21], v11, s[16:17]
	s_add_i32 s20, s21, -8
.LBB12_180:                             ;   in Loop: Header=BB12_145 Depth=1
	s_add_u32 s16, s4, 8
	s_addc_u32 s17, s5, 0
	s_cmp_gt_u32 s20, 7
	s_cbranch_scc1 .LBB12_185
; %bb.181:                              ;   in Loop: Header=BB12_145 Depth=1
	v_mov_b32_e32 v22, 0
	v_mov_b32_e32 v23, 0
	s_cmp_eq_u32 s20, 0
	s_cbranch_scc1 .LBB12_184
; %bb.182:                              ;   in Loop: Header=BB12_145 Depth=1
	s_mov_b64 s[16:17], 0
	s_mov_b64 s[18:19], 0
.LBB12_183:                             ;   Parent Loop BB12_145 Depth=1
                                        ; =>  This Inner Loop Header: Depth=2
	s_add_u32 s22, s4, s18
	s_addc_u32 s23, s5, s19
	s_add_u32 s18, s18, 1
	global_load_ubyte v2, v11, s[22:23]
	s_addc_u32 s19, s19, 0
	s_waitcnt vmcnt(0)
	v_and_b32_e32 v10, 0xffff, v2
	v_lshlrev_b64 v[2:3], s16, v[10:11]
	s_add_u32 s16, s16, 8
	s_addc_u32 s17, s17, 0
	s_cmp_lg_u32 s20, s18
	v_or_b32_e32 v22, v2, v22
	v_or_b32_e32 v23, v3, v23
	s_cbranch_scc1 .LBB12_183
.LBB12_184:                             ;   in Loop: Header=BB12_145 Depth=1
	s_mov_b64 s[16:17], s[4:5]
	s_mov_b32 s21, 0
	s_cbranch_execz .LBB12_186
	s_branch .LBB12_187
.LBB12_185:                             ;   in Loop: Header=BB12_145 Depth=1
                                        ; implicit-def: $vgpr22_vgpr23
	s_mov_b32 s21, 0
.LBB12_186:                             ;   in Loop: Header=BB12_145 Depth=1
	global_load_dwordx2 v[22:23], v11, s[4:5]
	s_add_i32 s21, s20, -8
.LBB12_187:                             ;   in Loop: Header=BB12_145 Depth=1
	s_cmp_gt_u32 s21, 7
	s_cbranch_scc1 .LBB12_192
; %bb.188:                              ;   in Loop: Header=BB12_145 Depth=1
	v_mov_b32_e32 v24, 0
	v_mov_b32_e32 v25, 0
	s_cmp_eq_u32 s21, 0
	s_cbranch_scc1 .LBB12_191
; %bb.189:                              ;   in Loop: Header=BB12_145 Depth=1
	s_mov_b64 s[4:5], 0
	s_mov_b64 s[18:19], s[16:17]
.LBB12_190:                             ;   Parent Loop BB12_145 Depth=1
                                        ; =>  This Inner Loop Header: Depth=2
	global_load_ubyte v2, v11, s[18:19]
	s_add_i32 s21, s21, -1
	s_waitcnt vmcnt(0)
	v_and_b32_e32 v10, 0xffff, v2
	v_lshlrev_b64 v[2:3], s4, v[10:11]
	s_add_u32 s4, s4, 8
	s_addc_u32 s5, s5, 0
	s_add_u32 s18, s18, 1
	s_addc_u32 s19, s19, 0
	s_cmp_lg_u32 s21, 0
	v_or_b32_e32 v24, v2, v24
	v_or_b32_e32 v25, v3, v25
	s_cbranch_scc1 .LBB12_190
.LBB12_191:                             ;   in Loop: Header=BB12_145 Depth=1
	s_cbranch_execz .LBB12_193
	s_branch .LBB12_194
.LBB12_192:                             ;   in Loop: Header=BB12_145 Depth=1
.LBB12_193:                             ;   in Loop: Header=BB12_145 Depth=1
	global_load_dwordx2 v[24:25], v11, s[16:17]
.LBB12_194:                             ;   in Loop: Header=BB12_145 Depth=1
	v_readfirstlane_b32 s4, v32
	v_mov_b32_e32 v2, 0
	v_mov_b32_e32 v3, 0
	v_cmp_eq_u32_e64 s4, s4, v32
	s_and_saveexec_b32 s5, s4
	s_cbranch_execz .LBB12_200
; %bb.195:                              ;   in Loop: Header=BB12_145 Depth=1
	global_load_dwordx2 v[28:29], v11, s[6:7] offset:24 glc dlc
	s_waitcnt vmcnt(0)
	buffer_gl1_inv
	buffer_gl0_inv
	s_clause 0x1
	global_load_dwordx2 v[2:3], v11, s[6:7] offset:40
	global_load_dwordx2 v[26:27], v11, s[6:7]
	s_mov_b32 s16, exec_lo
	s_waitcnt vmcnt(1)
	v_and_b32_e32 v3, v3, v29
	v_and_b32_e32 v2, v2, v28
	v_mul_lo_u32 v3, v3, 24
	v_mul_hi_u32 v10, v2, 24
	v_mul_lo_u32 v2, v2, 24
	v_add_nc_u32_e32 v3, v10, v3
	s_waitcnt vmcnt(0)
	v_add_co_u32 v2, vcc_lo, v26, v2
	v_add_co_ci_u32_e64 v3, null, v27, v3, vcc_lo
	global_load_dwordx2 v[26:27], v[2:3], off glc dlc
	s_waitcnt vmcnt(0)
	global_atomic_cmpswap_x2 v[2:3], v11, v[26:29], s[6:7] offset:24 glc
	s_waitcnt vmcnt(0)
	buffer_gl1_inv
	buffer_gl0_inv
	v_cmpx_ne_u64_e64 v[2:3], v[28:29]
	s_cbranch_execz .LBB12_199
; %bb.196:                              ;   in Loop: Header=BB12_145 Depth=1
	s_mov_b32 s17, 0
	.p2align	6
.LBB12_197:                             ;   Parent Loop BB12_145 Depth=1
                                        ; =>  This Inner Loop Header: Depth=2
	s_sleep 1
	s_clause 0x1
	global_load_dwordx2 v[26:27], v11, s[6:7] offset:40
	global_load_dwordx2 v[34:35], v11, s[6:7]
	v_mov_b32_e32 v29, v3
	v_mov_b32_e32 v28, v2
	s_waitcnt vmcnt(1)
	v_and_b32_e32 v2, v26, v28
	v_and_b32_e32 v10, v27, v29
	s_waitcnt vmcnt(0)
	v_mad_u64_u32 v[2:3], null, v2, 24, v[34:35]
	v_mad_u64_u32 v[26:27], null, v10, 24, v[3:4]
	v_mov_b32_e32 v3, v26
	global_load_dwordx2 v[26:27], v[2:3], off glc dlc
	s_waitcnt vmcnt(0)
	global_atomic_cmpswap_x2 v[2:3], v11, v[26:29], s[6:7] offset:24 glc
	s_waitcnt vmcnt(0)
	buffer_gl1_inv
	buffer_gl0_inv
	v_cmp_eq_u64_e32 vcc_lo, v[2:3], v[28:29]
	s_or_b32 s17, vcc_lo, s17
	s_andn2_b32 exec_lo, exec_lo, s17
	s_cbranch_execnz .LBB12_197
; %bb.198:                              ;   in Loop: Header=BB12_145 Depth=1
	s_or_b32 exec_lo, exec_lo, s17
.LBB12_199:                             ;   in Loop: Header=BB12_145 Depth=1
	s_or_b32 exec_lo, exec_lo, s16
.LBB12_200:                             ;   in Loop: Header=BB12_145 Depth=1
	s_or_b32 exec_lo, exec_lo, s5
	s_clause 0x1
	global_load_dwordx2 v[34:35], v11, s[6:7] offset:40
	global_load_dwordx4 v[26:29], v11, s[6:7]
	v_readfirstlane_b32 s17, v3
	v_readfirstlane_b32 s16, v2
	s_mov_b32 s5, exec_lo
	s_waitcnt vmcnt(1)
	v_readfirstlane_b32 s18, v34
	v_readfirstlane_b32 s19, v35
	s_and_b64 s[18:19], s[18:19], s[16:17]
	s_mul_i32 s20, s19, 24
	s_mul_hi_u32 s21, s18, 24
	s_mul_i32 s22, s18, 24
	s_add_i32 s21, s21, s20
	s_waitcnt vmcnt(0)
	v_add_co_u32 v2, vcc_lo, v26, s22
	v_add_co_ci_u32_e64 v3, null, s21, v27, vcc_lo
	s_and_saveexec_b32 s20, s4
	s_cbranch_execz .LBB12_202
; %bb.201:                              ;   in Loop: Header=BB12_145 Depth=1
	v_mov_b32_e32 v10, s5
	global_store_dwordx4 v[2:3], v[10:13], off offset:8
.LBB12_202:                             ;   in Loop: Header=BB12_145 Depth=1
	s_or_b32 exec_lo, exec_lo, s20
	v_cmp_lt_u64_e64 vcc_lo, s[12:13], 57
	s_lshl_b64 s[18:19], s[18:19], 12
	v_and_b32_e32 v6, 0xffffff1f, v6
	s_lshl_b32 s5, s14, 2
	s_add_i32 s5, s5, 28
	v_cndmask_b32_e32 v10, 0, v30, vcc_lo
	v_add_co_u32 v28, vcc_lo, v28, s18
	v_add_co_ci_u32_e64 v29, null, s19, v29, vcc_lo
	v_or_b32_e32 v6, v6, v10
	v_readfirstlane_b32 s18, v28
	v_readfirstlane_b32 s19, v29
	v_and_or_b32 v6, 0x1e0, s5, v6
	global_store_dwordx4 v33, v[14:17], s[18:19] offset:16
	global_store_dwordx4 v33, v[6:9], s[18:19]
	global_store_dwordx4 v33, v[18:21], s[18:19] offset:32
	global_store_dwordx4 v33, v[22:25], s[18:19] offset:48
	s_and_saveexec_b32 s5, s4
	s_cbranch_execz .LBB12_210
; %bb.203:                              ;   in Loop: Header=BB12_145 Depth=1
	s_clause 0x1
	global_load_dwordx2 v[18:19], v11, s[6:7] offset:32 glc dlc
	global_load_dwordx2 v[6:7], v11, s[6:7] offset:40
	v_mov_b32_e32 v16, s16
	v_mov_b32_e32 v17, s17
	s_waitcnt vmcnt(0)
	v_readfirstlane_b32 s18, v6
	v_readfirstlane_b32 s19, v7
	s_and_b64 s[18:19], s[18:19], s[16:17]
	s_mul_i32 s19, s19, 24
	s_mul_hi_u32 s20, s18, 24
	s_mul_i32 s18, s18, 24
	s_add_i32 s20, s20, s19
	v_add_co_u32 v14, vcc_lo, v26, s18
	v_add_co_ci_u32_e64 v15, null, s20, v27, vcc_lo
	s_mov_b32 s18, exec_lo
	global_store_dwordx2 v[14:15], v[18:19], off
	s_waitcnt_vscnt null, 0x0
	global_atomic_cmpswap_x2 v[8:9], v11, v[16:19], s[6:7] offset:32 glc
	s_waitcnt vmcnt(0)
	v_cmpx_ne_u64_e64 v[8:9], v[18:19]
	s_cbranch_execz .LBB12_206
; %bb.204:                              ;   in Loop: Header=BB12_145 Depth=1
	s_mov_b32 s19, 0
.LBB12_205:                             ;   Parent Loop BB12_145 Depth=1
                                        ; =>  This Inner Loop Header: Depth=2
	v_mov_b32_e32 v6, s16
	v_mov_b32_e32 v7, s17
	s_sleep 1
	global_store_dwordx2 v[14:15], v[8:9], off
	s_waitcnt_vscnt null, 0x0
	global_atomic_cmpswap_x2 v[6:7], v11, v[6:9], s[6:7] offset:32 glc
	s_waitcnt vmcnt(0)
	v_cmp_eq_u64_e32 vcc_lo, v[6:7], v[8:9]
	v_mov_b32_e32 v9, v7
	v_mov_b32_e32 v8, v6
	s_or_b32 s19, vcc_lo, s19
	s_andn2_b32 exec_lo, exec_lo, s19
	s_cbranch_execnz .LBB12_205
.LBB12_206:                             ;   in Loop: Header=BB12_145 Depth=1
	s_or_b32 exec_lo, exec_lo, s18
	global_load_dwordx2 v[6:7], v11, s[6:7] offset:16
	s_mov_b32 s19, exec_lo
	s_mov_b32 s18, exec_lo
	v_mbcnt_lo_u32_b32 v8, s19, 0
	v_cmpx_eq_u32_e32 0, v8
	s_cbranch_execz .LBB12_208
; %bb.207:                              ;   in Loop: Header=BB12_145 Depth=1
	s_bcnt1_i32_b32 s19, s19
	v_mov_b32_e32 v10, s19
	s_waitcnt vmcnt(0)
	global_atomic_add_x2 v[6:7], v[10:11], off offset:8
.LBB12_208:                             ;   in Loop: Header=BB12_145 Depth=1
	s_or_b32 exec_lo, exec_lo, s18
	s_waitcnt vmcnt(0)
	global_load_dwordx2 v[8:9], v[6:7], off offset:16
	s_waitcnt vmcnt(0)
	v_cmp_eq_u64_e32 vcc_lo, 0, v[8:9]
	s_cbranch_vccnz .LBB12_210
; %bb.209:                              ;   in Loop: Header=BB12_145 Depth=1
	global_load_dword v10, v[6:7], off offset:24
	s_waitcnt vmcnt(0)
	v_readfirstlane_b32 s18, v10
	s_waitcnt_vscnt null, 0x0
	global_store_dwordx2 v[8:9], v[10:11], off
	s_and_b32 m0, s18, 0x7fffff
	s_sendmsg sendmsg(MSG_INTERRUPT)
.LBB12_210:                             ;   in Loop: Header=BB12_145 Depth=1
	s_or_b32 exec_lo, exec_lo, s5
	v_add_co_u32 v6, vcc_lo, v28, v33
	v_add_co_ci_u32_e64 v7, null, 0, v29, vcc_lo
	s_branch .LBB12_214
	.p2align	6
.LBB12_211:                             ;   in Loop: Header=BB12_214 Depth=2
	s_or_b32 exec_lo, exec_lo, s5
	v_readfirstlane_b32 s5, v8
	s_cmp_eq_u32 s5, 0
	s_cbranch_scc1 .LBB12_213
; %bb.212:                              ;   in Loop: Header=BB12_214 Depth=2
	s_sleep 1
	s_cbranch_execnz .LBB12_214
	s_branch .LBB12_216
	.p2align	6
.LBB12_213:                             ;   in Loop: Header=BB12_145 Depth=1
	s_branch .LBB12_216
.LBB12_214:                             ;   Parent Loop BB12_145 Depth=1
                                        ; =>  This Inner Loop Header: Depth=2
	v_mov_b32_e32 v8, 1
	s_and_saveexec_b32 s5, s4
	s_cbranch_execz .LBB12_211
; %bb.215:                              ;   in Loop: Header=BB12_214 Depth=2
	global_load_dword v8, v[2:3], off offset:20 glc dlc
	s_waitcnt vmcnt(0)
	buffer_gl1_inv
	buffer_gl0_inv
	v_and_b32_e32 v8, 1, v8
	s_branch .LBB12_211
.LBB12_216:                             ;   in Loop: Header=BB12_145 Depth=1
	global_load_dwordx2 v[6:7], v[6:7], off
	s_and_saveexec_b32 s18, s4
	s_cbranch_execz .LBB12_144
; %bb.217:                              ;   in Loop: Header=BB12_145 Depth=1
	s_clause 0x2
	global_load_dwordx2 v[2:3], v11, s[6:7] offset:40
	global_load_dwordx2 v[18:19], v11, s[6:7] offset:24 glc dlc
	global_load_dwordx2 v[8:9], v11, s[6:7]
	s_waitcnt vmcnt(2)
	v_readfirstlane_b32 s20, v2
	v_readfirstlane_b32 s21, v3
	s_add_u32 s19, s20, 1
	s_addc_u32 s22, s21, 0
	s_add_u32 s4, s19, s16
	s_addc_u32 s5, s22, s17
	s_cmp_eq_u64 s[4:5], 0
	s_cselect_b32 s5, s22, s5
	s_cselect_b32 s4, s19, s4
	v_mov_b32_e32 v17, s5
	s_and_b64 s[16:17], s[4:5], s[20:21]
	v_mov_b32_e32 v16, s4
	s_mul_i32 s17, s17, 24
	s_mul_hi_u32 s19, s16, 24
	s_mul_i32 s16, s16, 24
	s_add_i32 s19, s19, s17
	s_waitcnt vmcnt(0)
	v_add_co_u32 v2, vcc_lo, v8, s16
	v_add_co_ci_u32_e64 v3, null, s19, v9, vcc_lo
	global_store_dwordx2 v[2:3], v[18:19], off
	s_waitcnt_vscnt null, 0x0
	global_atomic_cmpswap_x2 v[16:17], v11, v[16:19], s[6:7] offset:24 glc
	s_waitcnt vmcnt(0)
	v_cmp_ne_u64_e32 vcc_lo, v[16:17], v[18:19]
	s_and_b32 exec_lo, exec_lo, vcc_lo
	s_cbranch_execz .LBB12_144
; %bb.218:                              ;   in Loop: Header=BB12_145 Depth=1
	s_mov_b32 s16, 0
.LBB12_219:                             ;   Parent Loop BB12_145 Depth=1
                                        ; =>  This Inner Loop Header: Depth=2
	v_mov_b32_e32 v14, s4
	v_mov_b32_e32 v15, s5
	s_sleep 1
	global_store_dwordx2 v[2:3], v[16:17], off
	s_waitcnt_vscnt null, 0x0
	global_atomic_cmpswap_x2 v[8:9], v11, v[14:17], s[6:7] offset:24 glc
	s_waitcnt vmcnt(0)
	v_cmp_eq_u64_e32 vcc_lo, v[8:9], v[16:17]
	v_mov_b32_e32 v17, v9
	v_mov_b32_e32 v16, v8
	s_or_b32 s16, vcc_lo, s16
	s_andn2_b32 exec_lo, exec_lo, s16
	s_cbranch_execnz .LBB12_219
	s_branch .LBB12_144
.LBB12_220:
                                        ; implicit-def: $vgpr6_vgpr7
	s_cbranch_execnz .LBB12_222
	s_branch .LBB12_249
.LBB12_221:
	s_branch .LBB12_249
.LBB12_222:
	v_readfirstlane_b32 s4, v32
	v_mov_b32_e32 v10, 0
	v_mov_b32_e32 v11, 0
	v_cmp_eq_u32_e64 s4, s4, v32
	s_and_saveexec_b32 s5, s4
	s_cbranch_execz .LBB12_228
; %bb.223:
	v_mov_b32_e32 v2, 0
	s_mov_b32 s10, exec_lo
	global_load_dwordx2 v[8:9], v2, s[6:7] offset:24 glc dlc
	s_waitcnt vmcnt(0)
	buffer_gl1_inv
	buffer_gl0_inv
	s_clause 0x1
	global_load_dwordx2 v[6:7], v2, s[6:7] offset:40
	global_load_dwordx2 v[10:11], v2, s[6:7]
	s_waitcnt vmcnt(1)
	v_and_b32_e32 v3, v7, v9
	v_and_b32_e32 v6, v6, v8
	v_mul_lo_u32 v3, v3, 24
	v_mul_hi_u32 v7, v6, 24
	v_mul_lo_u32 v6, v6, 24
	v_add_nc_u32_e32 v3, v7, v3
	s_waitcnt vmcnt(0)
	v_add_co_u32 v6, vcc_lo, v10, v6
	v_add_co_ci_u32_e64 v7, null, v11, v3, vcc_lo
	global_load_dwordx2 v[6:7], v[6:7], off glc dlc
	s_waitcnt vmcnt(0)
	global_atomic_cmpswap_x2 v[10:11], v2, v[6:9], s[6:7] offset:24 glc
	s_waitcnt vmcnt(0)
	buffer_gl1_inv
	buffer_gl0_inv
	v_cmpx_ne_u64_e64 v[10:11], v[8:9]
	s_cbranch_execz .LBB12_227
; %bb.224:
	s_mov_b32 s11, 0
	.p2align	6
.LBB12_225:                             ; =>This Inner Loop Header: Depth=1
	s_sleep 1
	s_clause 0x1
	global_load_dwordx2 v[6:7], v2, s[6:7] offset:40
	global_load_dwordx2 v[12:13], v2, s[6:7]
	v_mov_b32_e32 v8, v10
	v_mov_b32_e32 v9, v11
	s_waitcnt vmcnt(1)
	v_and_b32_e32 v3, v6, v8
	v_and_b32_e32 v6, v7, v9
	s_waitcnt vmcnt(0)
	v_mad_u64_u32 v[10:11], null, v3, 24, v[12:13]
	v_mov_b32_e32 v3, v11
	v_mad_u64_u32 v[6:7], null, v6, 24, v[3:4]
	v_mov_b32_e32 v11, v6
	global_load_dwordx2 v[6:7], v[10:11], off glc dlc
	s_waitcnt vmcnt(0)
	global_atomic_cmpswap_x2 v[10:11], v2, v[6:9], s[6:7] offset:24 glc
	s_waitcnt vmcnt(0)
	buffer_gl1_inv
	buffer_gl0_inv
	v_cmp_eq_u64_e32 vcc_lo, v[10:11], v[8:9]
	s_or_b32 s11, vcc_lo, s11
	s_andn2_b32 exec_lo, exec_lo, s11
	s_cbranch_execnz .LBB12_225
; %bb.226:
	s_or_b32 exec_lo, exec_lo, s11
.LBB12_227:
	s_or_b32 exec_lo, exec_lo, s10
.LBB12_228:
	s_or_b32 exec_lo, exec_lo, s5
	v_mov_b32_e32 v2, 0
	v_readfirstlane_b32 s11, v11
	v_readfirstlane_b32 s10, v10
	s_mov_b32 s5, exec_lo
	s_clause 0x1
	global_load_dwordx2 v[12:13], v2, s[6:7] offset:40
	global_load_dwordx4 v[6:9], v2, s[6:7]
	s_waitcnt vmcnt(1)
	v_readfirstlane_b32 s12, v12
	v_readfirstlane_b32 s13, v13
	s_and_b64 s[12:13], s[12:13], s[10:11]
	s_mul_i32 s14, s13, 24
	s_mul_hi_u32 s15, s12, 24
	s_mul_i32 s16, s12, 24
	s_add_i32 s15, s15, s14
	s_waitcnt vmcnt(0)
	v_add_co_u32 v10, vcc_lo, v6, s16
	v_add_co_ci_u32_e64 v11, null, s15, v7, vcc_lo
	s_and_saveexec_b32 s14, s4
	s_cbranch_execz .LBB12_230
; %bb.229:
	v_mov_b32_e32 v12, s5
	v_mov_b32_e32 v13, v2
	v_mov_b32_e32 v14, 2
	v_mov_b32_e32 v15, 1
	global_store_dwordx4 v[10:11], v[12:15], off offset:8
.LBB12_230:
	s_or_b32 exec_lo, exec_lo, s14
	s_lshl_b64 s[12:13], s[12:13], 12
	v_and_or_b32 v0, 0xffffff1f, v0, 32
	v_add_co_u32 v8, vcc_lo, v8, s12
	v_add_co_ci_u32_e64 v9, null, s13, v9, vcc_lo
	s_mov_b32 s12, 0
	v_readfirstlane_b32 s16, v8
	v_add_co_u32 v8, vcc_lo, v8, v33
	s_mov_b32 s13, s12
	s_mov_b32 s14, s12
	;; [unrolled: 1-line block ×3, first 2 shown]
	v_mov_b32_e32 v3, v2
	v_readfirstlane_b32 s17, v9
	v_mov_b32_e32 v12, s12
	v_add_co_ci_u32_e64 v9, null, 0, v9, vcc_lo
	v_mov_b32_e32 v13, s13
	v_mov_b32_e32 v14, s14
	;; [unrolled: 1-line block ×3, first 2 shown]
	global_store_dwordx4 v33, v[0:3], s[16:17]
	global_store_dwordx4 v33, v[12:15], s[16:17] offset:16
	global_store_dwordx4 v33, v[12:15], s[16:17] offset:32
	;; [unrolled: 1-line block ×3, first 2 shown]
	s_and_saveexec_b32 s5, s4
	s_cbranch_execz .LBB12_238
; %bb.231:
	v_mov_b32_e32 v12, 0
	v_mov_b32_e32 v13, s10
	;; [unrolled: 1-line block ×3, first 2 shown]
	s_clause 0x1
	global_load_dwordx2 v[15:16], v12, s[6:7] offset:32 glc dlc
	global_load_dwordx2 v[0:1], v12, s[6:7] offset:40
	s_waitcnt vmcnt(0)
	v_readfirstlane_b32 s12, v0
	v_readfirstlane_b32 s13, v1
	s_and_b64 s[12:13], s[12:13], s[10:11]
	s_mul_i32 s13, s13, 24
	s_mul_hi_u32 s14, s12, 24
	s_mul_i32 s12, s12, 24
	s_add_i32 s14, s14, s13
	v_add_co_u32 v6, vcc_lo, v6, s12
	v_add_co_ci_u32_e64 v7, null, s14, v7, vcc_lo
	s_mov_b32 s12, exec_lo
	global_store_dwordx2 v[6:7], v[15:16], off
	s_waitcnt_vscnt null, 0x0
	global_atomic_cmpswap_x2 v[2:3], v12, v[13:16], s[6:7] offset:32 glc
	s_waitcnt vmcnt(0)
	v_cmpx_ne_u64_e64 v[2:3], v[15:16]
	s_cbranch_execz .LBB12_234
; %bb.232:
	s_mov_b32 s13, 0
.LBB12_233:                             ; =>This Inner Loop Header: Depth=1
	v_mov_b32_e32 v0, s10
	v_mov_b32_e32 v1, s11
	s_sleep 1
	global_store_dwordx2 v[6:7], v[2:3], off
	s_waitcnt_vscnt null, 0x0
	global_atomic_cmpswap_x2 v[0:1], v12, v[0:3], s[6:7] offset:32 glc
	s_waitcnt vmcnt(0)
	v_cmp_eq_u64_e32 vcc_lo, v[0:1], v[2:3]
	v_mov_b32_e32 v3, v1
	v_mov_b32_e32 v2, v0
	s_or_b32 s13, vcc_lo, s13
	s_andn2_b32 exec_lo, exec_lo, s13
	s_cbranch_execnz .LBB12_233
.LBB12_234:
	s_or_b32 exec_lo, exec_lo, s12
	v_mov_b32_e32 v3, 0
	s_mov_b32 s13, exec_lo
	s_mov_b32 s12, exec_lo
	v_mbcnt_lo_u32_b32 v2, s13, 0
	global_load_dwordx2 v[0:1], v3, s[6:7] offset:16
	v_cmpx_eq_u32_e32 0, v2
	s_cbranch_execz .LBB12_236
; %bb.235:
	s_bcnt1_i32_b32 s13, s13
	v_mov_b32_e32 v2, s13
	s_waitcnt vmcnt(0)
	global_atomic_add_x2 v[0:1], v[2:3], off offset:8
.LBB12_236:
	s_or_b32 exec_lo, exec_lo, s12
	s_waitcnt vmcnt(0)
	global_load_dwordx2 v[2:3], v[0:1], off offset:16
	s_waitcnt vmcnt(0)
	v_cmp_eq_u64_e32 vcc_lo, 0, v[2:3]
	s_cbranch_vccnz .LBB12_238
; %bb.237:
	global_load_dword v0, v[0:1], off offset:24
	v_mov_b32_e32 v1, 0
	s_waitcnt vmcnt(0)
	v_readfirstlane_b32 s12, v0
	s_waitcnt_vscnt null, 0x0
	global_store_dwordx2 v[2:3], v[0:1], off
	s_and_b32 m0, s12, 0x7fffff
	s_sendmsg sendmsg(MSG_INTERRUPT)
.LBB12_238:
	s_or_b32 exec_lo, exec_lo, s5
	s_branch .LBB12_242
	.p2align	6
.LBB12_239:                             ;   in Loop: Header=BB12_242 Depth=1
	s_or_b32 exec_lo, exec_lo, s5
	v_readfirstlane_b32 s5, v0
	s_cmp_eq_u32 s5, 0
	s_cbranch_scc1 .LBB12_241
; %bb.240:                              ;   in Loop: Header=BB12_242 Depth=1
	s_sleep 1
	s_cbranch_execnz .LBB12_242
	s_branch .LBB12_244
	.p2align	6
.LBB12_241:
	s_branch .LBB12_244
.LBB12_242:                             ; =>This Inner Loop Header: Depth=1
	v_mov_b32_e32 v0, 1
	s_and_saveexec_b32 s5, s4
	s_cbranch_execz .LBB12_239
; %bb.243:                              ;   in Loop: Header=BB12_242 Depth=1
	global_load_dword v0, v[10:11], off offset:20 glc dlc
	s_waitcnt vmcnt(0)
	buffer_gl1_inv
	buffer_gl0_inv
	v_and_b32_e32 v0, 1, v0
	s_branch .LBB12_239
.LBB12_244:
	global_load_dwordx2 v[6:7], v[8:9], off
	s_and_saveexec_b32 s12, s4
	s_cbranch_execz .LBB12_248
; %bb.245:
	v_mov_b32_e32 v10, 0
	s_clause 0x2
	global_load_dwordx2 v[0:1], v10, s[6:7] offset:40
	global_load_dwordx2 v[13:14], v10, s[6:7] offset:24 glc dlc
	global_load_dwordx2 v[2:3], v10, s[6:7]
	s_waitcnt vmcnt(2)
	v_readfirstlane_b32 s14, v0
	v_readfirstlane_b32 s15, v1
	s_add_u32 s13, s14, 1
	s_addc_u32 s16, s15, 0
	s_add_u32 s4, s13, s10
	s_addc_u32 s5, s16, s11
	s_cmp_eq_u64 s[4:5], 0
	s_cselect_b32 s5, s16, s5
	s_cselect_b32 s4, s13, s4
	v_mov_b32_e32 v12, s5
	s_and_b64 s[10:11], s[4:5], s[14:15]
	v_mov_b32_e32 v11, s4
	s_mul_i32 s11, s11, 24
	s_mul_hi_u32 s13, s10, 24
	s_mul_i32 s10, s10, 24
	s_add_i32 s13, s13, s11
	s_waitcnt vmcnt(0)
	v_add_co_u32 v8, vcc_lo, v2, s10
	v_add_co_ci_u32_e64 v9, null, s13, v3, vcc_lo
	global_store_dwordx2 v[8:9], v[13:14], off
	s_waitcnt_vscnt null, 0x0
	global_atomic_cmpswap_x2 v[2:3], v10, v[11:14], s[6:7] offset:24 glc
	s_waitcnt vmcnt(0)
	v_cmp_ne_u64_e32 vcc_lo, v[2:3], v[13:14]
	s_and_b32 exec_lo, exec_lo, vcc_lo
	s_cbranch_execz .LBB12_248
; %bb.246:
	s_mov_b32 s10, 0
.LBB12_247:                             ; =>This Inner Loop Header: Depth=1
	v_mov_b32_e32 v0, s4
	v_mov_b32_e32 v1, s5
	s_sleep 1
	global_store_dwordx2 v[8:9], v[2:3], off
	s_waitcnt_vscnt null, 0x0
	global_atomic_cmpswap_x2 v[0:1], v10, v[0:3], s[6:7] offset:24 glc
	s_waitcnt vmcnt(0)
	v_cmp_eq_u64_e32 vcc_lo, v[0:1], v[2:3]
	v_mov_b32_e32 v3, v1
	v_mov_b32_e32 v2, v0
	s_or_b32 s10, vcc_lo, s10
	s_andn2_b32 exec_lo, exec_lo, s10
	s_cbranch_execnz .LBB12_247
.LBB12_248:
	s_or_b32 exec_lo, exec_lo, s12
.LBB12_249:
	v_readfirstlane_b32 s4, v32
	v_mov_b32_e32 v10, 0
	v_mov_b32_e32 v11, 0
	v_cmp_eq_u32_e64 s4, s4, v32
	s_and_saveexec_b32 s5, s4
	s_cbranch_execz .LBB12_255
; %bb.250:
	s_waitcnt vmcnt(0)
	v_mov_b32_e32 v0, 0
	s_mov_b32 s10, exec_lo
	global_load_dwordx2 v[12:13], v0, s[6:7] offset:24 glc dlc
	s_waitcnt vmcnt(0)
	buffer_gl1_inv
	buffer_gl0_inv
	s_clause 0x1
	global_load_dwordx2 v[1:2], v0, s[6:7] offset:40
	global_load_dwordx2 v[8:9], v0, s[6:7]
	s_waitcnt vmcnt(1)
	v_and_b32_e32 v2, v2, v13
	v_and_b32_e32 v1, v1, v12
	v_mul_lo_u32 v2, v2, 24
	v_mul_hi_u32 v3, v1, 24
	v_mul_lo_u32 v1, v1, 24
	v_add_nc_u32_e32 v2, v3, v2
	s_waitcnt vmcnt(0)
	v_add_co_u32 v1, vcc_lo, v8, v1
	v_add_co_ci_u32_e64 v2, null, v9, v2, vcc_lo
	global_load_dwordx2 v[10:11], v[1:2], off glc dlc
	s_waitcnt vmcnt(0)
	global_atomic_cmpswap_x2 v[10:11], v0, v[10:13], s[6:7] offset:24 glc
	s_waitcnt vmcnt(0)
	buffer_gl1_inv
	buffer_gl0_inv
	v_cmpx_ne_u64_e64 v[10:11], v[12:13]
	s_cbranch_execz .LBB12_254
; %bb.251:
	s_mov_b32 s11, 0
	.p2align	6
.LBB12_252:                             ; =>This Inner Loop Header: Depth=1
	s_sleep 1
	s_clause 0x1
	global_load_dwordx2 v[1:2], v0, s[6:7] offset:40
	global_load_dwordx2 v[8:9], v0, s[6:7]
	v_mov_b32_e32 v13, v11
	v_mov_b32_e32 v12, v10
	s_waitcnt vmcnt(1)
	v_and_b32_e32 v1, v1, v12
	v_and_b32_e32 v2, v2, v13
	s_waitcnt vmcnt(0)
	v_mad_u64_u32 v[8:9], null, v1, 24, v[8:9]
	v_mov_b32_e32 v1, v9
	v_mad_u64_u32 v[1:2], null, v2, 24, v[1:2]
	v_mov_b32_e32 v9, v1
	global_load_dwordx2 v[10:11], v[8:9], off glc dlc
	s_waitcnt vmcnt(0)
	global_atomic_cmpswap_x2 v[10:11], v0, v[10:13], s[6:7] offset:24 glc
	s_waitcnt vmcnt(0)
	buffer_gl1_inv
	buffer_gl0_inv
	v_cmp_eq_u64_e32 vcc_lo, v[10:11], v[12:13]
	s_or_b32 s11, vcc_lo, s11
	s_andn2_b32 exec_lo, exec_lo, s11
	s_cbranch_execnz .LBB12_252
; %bb.253:
	s_or_b32 exec_lo, exec_lo, s11
.LBB12_254:
	s_or_b32 exec_lo, exec_lo, s10
.LBB12_255:
	s_or_b32 exec_lo, exec_lo, s5
	v_mov_b32_e32 v9, 0
	v_readfirstlane_b32 s11, v11
	v_readfirstlane_b32 s10, v10
	s_mov_b32 s5, exec_lo
	s_clause 0x1
	global_load_dwordx2 v[12:13], v9, s[6:7] offset:40
	global_load_dwordx4 v[0:3], v9, s[6:7]
	s_waitcnt vmcnt(1)
	v_readfirstlane_b32 s12, v12
	v_readfirstlane_b32 s13, v13
	s_and_b64 s[12:13], s[12:13], s[10:11]
	s_mul_i32 s14, s13, 24
	s_mul_hi_u32 s15, s12, 24
	s_mul_i32 s16, s12, 24
	s_add_i32 s15, s15, s14
	s_waitcnt vmcnt(0)
	v_add_co_u32 v10, vcc_lo, v0, s16
	v_add_co_ci_u32_e64 v11, null, s15, v1, vcc_lo
	s_and_saveexec_b32 s14, s4
	s_cbranch_execz .LBB12_257
; %bb.256:
	v_mov_b32_e32 v8, s5
	v_mov_b32_e32 v13, v9
	;; [unrolled: 1-line block ×5, first 2 shown]
	global_store_dwordx4 v[10:11], v[12:15], off offset:8
.LBB12_257:
	s_or_b32 exec_lo, exec_lo, s14
	s_lshl_b64 s[12:13], s[12:13], 12
	v_and_or_b32 v6, 0xffffff1f, v6, 32
	v_add_co_u32 v2, vcc_lo, v2, s12
	v_add_co_ci_u32_e64 v3, null, s13, v3, vcc_lo
	s_mov_b32 s12, 0
	v_add_co_u32 v12, vcc_lo, v2, v33
	s_mov_b32 s15, s12
	s_mov_b32 s13, s12
	;; [unrolled: 1-line block ×3, first 2 shown]
	v_mov_b32_e32 v8, 0x13e
	v_readfirstlane_b32 s16, v2
	v_readfirstlane_b32 s17, v3
	v_mov_b32_e32 v17, s15
	v_add_co_ci_u32_e64 v13, null, 0, v3, vcc_lo
	v_mov_b32_e32 v16, s14
	v_mov_b32_e32 v15, s13
	;; [unrolled: 1-line block ×3, first 2 shown]
	global_store_dwordx4 v33, v[6:9], s[16:17]
	global_store_dwordx4 v33, v[14:17], s[16:17] offset:16
	global_store_dwordx4 v33, v[14:17], s[16:17] offset:32
	;; [unrolled: 1-line block ×3, first 2 shown]
	s_and_saveexec_b32 s5, s4
	s_cbranch_execz .LBB12_265
; %bb.258:
	v_mov_b32_e32 v8, 0
	v_mov_b32_e32 v14, s10
	;; [unrolled: 1-line block ×3, first 2 shown]
	s_clause 0x1
	global_load_dwordx2 v[16:17], v8, s[6:7] offset:32 glc dlc
	global_load_dwordx2 v[2:3], v8, s[6:7] offset:40
	s_waitcnt vmcnt(0)
	v_readfirstlane_b32 s12, v2
	v_readfirstlane_b32 s13, v3
	s_and_b64 s[12:13], s[12:13], s[10:11]
	s_mul_i32 s13, s13, 24
	s_mul_hi_u32 s14, s12, 24
	s_mul_i32 s12, s12, 24
	s_add_i32 s14, s14, s13
	v_add_co_u32 v6, vcc_lo, v0, s12
	v_add_co_ci_u32_e64 v7, null, s14, v1, vcc_lo
	s_mov_b32 s12, exec_lo
	global_store_dwordx2 v[6:7], v[16:17], off
	s_waitcnt_vscnt null, 0x0
	global_atomic_cmpswap_x2 v[2:3], v8, v[14:17], s[6:7] offset:32 glc
	s_waitcnt vmcnt(0)
	v_cmpx_ne_u64_e64 v[2:3], v[16:17]
	s_cbranch_execz .LBB12_261
; %bb.259:
	s_mov_b32 s13, 0
.LBB12_260:                             ; =>This Inner Loop Header: Depth=1
	v_mov_b32_e32 v0, s10
	v_mov_b32_e32 v1, s11
	s_sleep 1
	global_store_dwordx2 v[6:7], v[2:3], off
	s_waitcnt_vscnt null, 0x0
	global_atomic_cmpswap_x2 v[0:1], v8, v[0:3], s[6:7] offset:32 glc
	s_waitcnt vmcnt(0)
	v_cmp_eq_u64_e32 vcc_lo, v[0:1], v[2:3]
	v_mov_b32_e32 v3, v1
	v_mov_b32_e32 v2, v0
	s_or_b32 s13, vcc_lo, s13
	s_andn2_b32 exec_lo, exec_lo, s13
	s_cbranch_execnz .LBB12_260
.LBB12_261:
	s_or_b32 exec_lo, exec_lo, s12
	v_mov_b32_e32 v3, 0
	s_mov_b32 s13, exec_lo
	s_mov_b32 s12, exec_lo
	v_mbcnt_lo_u32_b32 v2, s13, 0
	global_load_dwordx2 v[0:1], v3, s[6:7] offset:16
	v_cmpx_eq_u32_e32 0, v2
	s_cbranch_execz .LBB12_263
; %bb.262:
	s_bcnt1_i32_b32 s13, s13
	v_mov_b32_e32 v2, s13
	s_waitcnt vmcnt(0)
	global_atomic_add_x2 v[0:1], v[2:3], off offset:8
.LBB12_263:
	s_or_b32 exec_lo, exec_lo, s12
	s_waitcnt vmcnt(0)
	global_load_dwordx2 v[2:3], v[0:1], off offset:16
	s_waitcnt vmcnt(0)
	v_cmp_eq_u64_e32 vcc_lo, 0, v[2:3]
	s_cbranch_vccnz .LBB12_265
; %bb.264:
	global_load_dword v0, v[0:1], off offset:24
	v_mov_b32_e32 v1, 0
	s_waitcnt vmcnt(0)
	v_readfirstlane_b32 s12, v0
	s_waitcnt_vscnt null, 0x0
	global_store_dwordx2 v[2:3], v[0:1], off
	s_and_b32 m0, s12, 0x7fffff
	s_sendmsg sendmsg(MSG_INTERRUPT)
.LBB12_265:
	s_or_b32 exec_lo, exec_lo, s5
	s_branch .LBB12_269
	.p2align	6
.LBB12_266:                             ;   in Loop: Header=BB12_269 Depth=1
	s_or_b32 exec_lo, exec_lo, s5
	v_readfirstlane_b32 s5, v0
	s_cmp_eq_u32 s5, 0
	s_cbranch_scc1 .LBB12_268
; %bb.267:                              ;   in Loop: Header=BB12_269 Depth=1
	s_sleep 1
	s_cbranch_execnz .LBB12_269
	s_branch .LBB12_271
	.p2align	6
.LBB12_268:
	s_branch .LBB12_271
.LBB12_269:                             ; =>This Inner Loop Header: Depth=1
	v_mov_b32_e32 v0, 1
	s_and_saveexec_b32 s5, s4
	s_cbranch_execz .LBB12_266
; %bb.270:                              ;   in Loop: Header=BB12_269 Depth=1
	global_load_dword v0, v[10:11], off offset:20 glc dlc
	s_waitcnt vmcnt(0)
	buffer_gl1_inv
	buffer_gl0_inv
	v_and_b32_e32 v0, 1, v0
	s_branch .LBB12_266
.LBB12_271:
	global_load_dwordx2 v[0:1], v[12:13], off
	s_and_saveexec_b32 s12, s4
	s_cbranch_execz .LBB12_275
; %bb.272:
	v_mov_b32_e32 v10, 0
	s_clause 0x2
	global_load_dwordx2 v[2:3], v10, s[6:7] offset:40
	global_load_dwordx2 v[13:14], v10, s[6:7] offset:24 glc dlc
	global_load_dwordx2 v[6:7], v10, s[6:7]
	s_waitcnt vmcnt(2)
	v_readfirstlane_b32 s14, v2
	v_readfirstlane_b32 s15, v3
	s_add_u32 s13, s14, 1
	s_addc_u32 s16, s15, 0
	s_add_u32 s4, s13, s10
	s_addc_u32 s5, s16, s11
	s_cmp_eq_u64 s[4:5], 0
	s_cselect_b32 s5, s16, s5
	s_cselect_b32 s4, s13, s4
	v_mov_b32_e32 v12, s5
	s_and_b64 s[10:11], s[4:5], s[14:15]
	v_mov_b32_e32 v11, s4
	s_mul_i32 s11, s11, 24
	s_mul_hi_u32 s13, s10, 24
	s_mul_i32 s10, s10, 24
	s_add_i32 s13, s13, s11
	s_waitcnt vmcnt(0)
	v_add_co_u32 v2, vcc_lo, v6, s10
	v_add_co_ci_u32_e64 v3, null, s13, v7, vcc_lo
	global_store_dwordx2 v[2:3], v[13:14], off
	s_waitcnt_vscnt null, 0x0
	global_atomic_cmpswap_x2 v[8:9], v10, v[11:14], s[6:7] offset:24 glc
	s_waitcnt vmcnt(0)
	v_cmp_ne_u64_e32 vcc_lo, v[8:9], v[13:14]
	s_and_b32 exec_lo, exec_lo, vcc_lo
	s_cbranch_execz .LBB12_275
; %bb.273:
	s_mov_b32 s10, 0
.LBB12_274:                             ; =>This Inner Loop Header: Depth=1
	v_mov_b32_e32 v6, s4
	v_mov_b32_e32 v7, s5
	s_sleep 1
	global_store_dwordx2 v[2:3], v[8:9], off
	s_waitcnt_vscnt null, 0x0
	global_atomic_cmpswap_x2 v[6:7], v10, v[6:9], s[6:7] offset:24 glc
	s_waitcnt vmcnt(0)
	v_cmp_eq_u64_e32 vcc_lo, v[6:7], v[8:9]
	v_mov_b32_e32 v9, v7
	v_mov_b32_e32 v8, v6
	s_or_b32 s10, vcc_lo, s10
	s_andn2_b32 exec_lo, exec_lo, s10
	s_cbranch_execnz .LBB12_274
.LBB12_275:
	s_or_b32 exec_lo, exec_lo, s12
	v_mov_b32_e32 v7, v5
	v_mov_b32_e32 v6, v4
	s_mov_b32 s4, 0
.LBB12_276:                             ; =>This Inner Loop Header: Depth=1
	global_load_ubyte v8, v[6:7], off
	v_add_co_u32 v2, vcc_lo, v6, 1
	v_add_co_ci_u32_e64 v3, null, 0, v7, vcc_lo
	v_mov_b32_e32 v7, v3
	v_mov_b32_e32 v6, v2
	s_waitcnt vmcnt(0)
	v_cmp_eq_u16_e32 vcc_lo, 0, v8
	s_or_b32 s4, vcc_lo, s4
	s_andn2_b32 exec_lo, exec_lo, s4
	s_cbranch_execnz .LBB12_276
; %bb.277:
	s_or_b32 exec_lo, exec_lo, s4
	s_mov_b32 s4, exec_lo
	v_cmpx_ne_u64_e32 0, v[4:5]
	s_xor_b32 s14, exec_lo, s4
	s_cbranch_execz .LBB12_363
; %bb.278:
	v_sub_nc_u32_e32 v26, v2, v4
	v_and_b32_e32 v34, 2, v0
	v_mov_b32_e32 v7, 0
	v_and_b32_e32 v0, -3, v0
	v_mov_b32_e32 v8, 2
	v_ashrrev_i32_e32 v27, 31, v26
	v_mov_b32_e32 v9, 1
	s_mov_b32 s16, 0
	s_mov_b32 s15, 0
	s_branch .LBB12_280
.LBB12_279:                             ;   in Loop: Header=BB12_280 Depth=1
	s_or_b32 exec_lo, exec_lo, s12
	v_sub_co_u32 v26, vcc_lo, v26, v28
	v_sub_co_ci_u32_e64 v27, null, v27, v29, vcc_lo
	v_add_co_u32 v4, s4, v4, v28
	v_add_co_ci_u32_e64 v5, null, v5, v29, s4
	v_cmp_eq_u64_e32 vcc_lo, 0, v[26:27]
	s_or_b32 s15, vcc_lo, s15
	s_andn2_b32 exec_lo, exec_lo, s15
	s_cbranch_execz .LBB12_362
.LBB12_280:                             ; =>This Loop Header: Depth=1
                                        ;     Child Loop BB12_283 Depth 2
                                        ;     Child Loop BB12_291 Depth 2
	;; [unrolled: 1-line block ×11, first 2 shown]
	v_cmp_gt_u64_e32 vcc_lo, 56, v[26:27]
	s_mov_b32 s5, exec_lo
	v_cndmask_b32_e32 v29, 0, v27, vcc_lo
	v_cndmask_b32_e32 v28, 56, v26, vcc_lo
	v_add_co_u32 v12, vcc_lo, v4, 8
	v_add_co_ci_u32_e64 v13, null, 0, v5, vcc_lo
	v_cmpx_gt_u64_e32 8, v[26:27]
	s_xor_b32 s5, exec_lo, s5
	s_cbranch_execz .LBB12_286
; %bb.281:                              ;   in Loop: Header=BB12_280 Depth=1
	v_mov_b32_e32 v2, 0
	v_mov_b32_e32 v3, 0
	s_mov_b32 s12, exec_lo
	v_cmpx_ne_u64_e32 0, v[26:27]
	s_cbranch_execz .LBB12_285
; %bb.282:                              ;   in Loop: Header=BB12_280 Depth=1
	v_lshlrev_b64 v[10:11], 3, v[28:29]
	v_mov_b32_e32 v2, 0
	v_mov_b32_e32 v12, v5
	v_mov_b32_e32 v3, 0
	v_mov_b32_e32 v11, v4
	s_mov_b64 s[10:11], 0
	s_mov_b32 s13, 0
	.p2align	6
.LBB12_283:                             ;   Parent Loop BB12_280 Depth=1
                                        ; =>  This Inner Loop Header: Depth=2
	global_load_ubyte v6, v[11:12], off
	v_mov_b32_e32 v14, s16
	v_add_co_u32 v11, vcc_lo, v11, 1
	v_add_co_ci_u32_e64 v12, null, 0, v12, vcc_lo
	s_waitcnt vmcnt(0)
	v_and_b32_e32 v13, 0xffff, v6
	v_lshlrev_b64 v[13:14], s10, v[13:14]
	s_add_u32 s10, s10, 8
	s_addc_u32 s11, s11, 0
	v_cmp_eq_u32_e64 s4, s10, v10
	v_or_b32_e32 v3, v14, v3
	v_or_b32_e32 v2, v13, v2
	s_or_b32 s13, s4, s13
	s_andn2_b32 exec_lo, exec_lo, s13
	s_cbranch_execnz .LBB12_283
; %bb.284:                              ;   in Loop: Header=BB12_280 Depth=1
	s_or_b32 exec_lo, exec_lo, s13
.LBB12_285:                             ;   in Loop: Header=BB12_280 Depth=1
	s_or_b32 exec_lo, exec_lo, s12
	v_mov_b32_e32 v13, v5
	v_mov_b32_e32 v12, v4
.LBB12_286:                             ;   in Loop: Header=BB12_280 Depth=1
	s_or_saveexec_b32 s4, s5
	v_mov_b32_e32 v6, 0
	s_xor_b32 exec_lo, exec_lo, s4
	s_cbranch_execz .LBB12_288
; %bb.287:                              ;   in Loop: Header=BB12_280 Depth=1
	global_load_dwordx2 v[2:3], v[4:5], off
	v_add_nc_u32_e32 v6, -8, v28
.LBB12_288:                             ;   in Loop: Header=BB12_280 Depth=1
	s_or_b32 exec_lo, exec_lo, s4
	v_add_co_u32 v14, s4, v12, 8
	v_add_co_ci_u32_e64 v15, null, 0, v13, s4
                                        ; implicit-def: $vgpr10_vgpr11
	s_mov_b32 s4, exec_lo
	v_cmpx_gt_u32_e32 8, v6
	s_xor_b32 s12, exec_lo, s4
	s_cbranch_execz .LBB12_294
; %bb.289:                              ;   in Loop: Header=BB12_280 Depth=1
	v_mov_b32_e32 v10, 0
	v_mov_b32_e32 v11, 0
	s_mov_b32 s13, exec_lo
	v_cmpx_ne_u32_e32 0, v6
	s_cbranch_execz .LBB12_293
; %bb.290:                              ;   in Loop: Header=BB12_280 Depth=1
	v_mov_b32_e32 v10, 0
	v_mov_b32_e32 v11, 0
	s_mov_b64 s[4:5], 0
	s_mov_b32 s17, 0
	s_mov_b64 s[10:11], 0
	.p2align	6
.LBB12_291:                             ;   Parent Loop BB12_280 Depth=1
                                        ; =>  This Inner Loop Header: Depth=2
	v_add_co_u32 v14, vcc_lo, v12, s10
	v_add_co_ci_u32_e64 v15, null, s11, v13, vcc_lo
	s_add_u32 s10, s10, 1
	s_addc_u32 s11, s11, 0
	v_cmp_eq_u32_e32 vcc_lo, s10, v6
	global_load_ubyte v14, v[14:15], off
	v_mov_b32_e32 v15, s16
	s_waitcnt vmcnt(0)
	v_and_b32_e32 v14, 0xffff, v14
	v_lshlrev_b64 v[14:15], s4, v[14:15]
	s_add_u32 s4, s4, 8
	s_addc_u32 s5, s5, 0
	s_or_b32 s17, vcc_lo, s17
	v_or_b32_e32 v11, v15, v11
	v_or_b32_e32 v10, v14, v10
	s_andn2_b32 exec_lo, exec_lo, s17
	s_cbranch_execnz .LBB12_291
; %bb.292:                              ;   in Loop: Header=BB12_280 Depth=1
	s_or_b32 exec_lo, exec_lo, s17
.LBB12_293:                             ;   in Loop: Header=BB12_280 Depth=1
	s_or_b32 exec_lo, exec_lo, s13
	v_mov_b32_e32 v15, v13
	v_mov_b32_e32 v14, v12
                                        ; implicit-def: $vgpr6
.LBB12_294:                             ;   in Loop: Header=BB12_280 Depth=1
	s_or_saveexec_b32 s4, s12
	v_mov_b32_e32 v18, 0
	s_xor_b32 exec_lo, exec_lo, s4
	s_cbranch_execz .LBB12_296
; %bb.295:                              ;   in Loop: Header=BB12_280 Depth=1
	global_load_dwordx2 v[10:11], v[12:13], off
	v_add_nc_u32_e32 v18, -8, v6
.LBB12_296:                             ;   in Loop: Header=BB12_280 Depth=1
	s_or_b32 exec_lo, exec_lo, s4
	v_add_co_u32 v16, s4, v14, 8
	v_add_co_ci_u32_e64 v17, null, 0, v15, s4
	s_mov_b32 s4, exec_lo
	v_cmpx_gt_u32_e32 8, v18
	s_xor_b32 s12, exec_lo, s4
	s_cbranch_execz .LBB12_302
; %bb.297:                              ;   in Loop: Header=BB12_280 Depth=1
	v_mov_b32_e32 v12, 0
	v_mov_b32_e32 v13, 0
	s_mov_b32 s13, exec_lo
	v_cmpx_ne_u32_e32 0, v18
	s_cbranch_execz .LBB12_301
; %bb.298:                              ;   in Loop: Header=BB12_280 Depth=1
	v_mov_b32_e32 v12, 0
	v_mov_b32_e32 v13, 0
	s_mov_b64 s[4:5], 0
	s_mov_b32 s17, 0
	s_mov_b64 s[10:11], 0
	.p2align	6
.LBB12_299:                             ;   Parent Loop BB12_280 Depth=1
                                        ; =>  This Inner Loop Header: Depth=2
	v_add_co_u32 v16, vcc_lo, v14, s10
	v_add_co_ci_u32_e64 v17, null, s11, v15, vcc_lo
	s_add_u32 s10, s10, 1
	s_addc_u32 s11, s11, 0
	v_cmp_eq_u32_e32 vcc_lo, s10, v18
	global_load_ubyte v6, v[16:17], off
	v_mov_b32_e32 v17, s16
	s_waitcnt vmcnt(0)
	v_and_b32_e32 v16, 0xffff, v6
	v_lshlrev_b64 v[16:17], s4, v[16:17]
	s_add_u32 s4, s4, 8
	s_addc_u32 s5, s5, 0
	s_or_b32 s17, vcc_lo, s17
	v_or_b32_e32 v13, v17, v13
	v_or_b32_e32 v12, v16, v12
	s_andn2_b32 exec_lo, exec_lo, s17
	s_cbranch_execnz .LBB12_299
; %bb.300:                              ;   in Loop: Header=BB12_280 Depth=1
	s_or_b32 exec_lo, exec_lo, s17
.LBB12_301:                             ;   in Loop: Header=BB12_280 Depth=1
	s_or_b32 exec_lo, exec_lo, s13
	v_mov_b32_e32 v17, v15
	v_mov_b32_e32 v16, v14
                                        ; implicit-def: $vgpr18
.LBB12_302:                             ;   in Loop: Header=BB12_280 Depth=1
	s_or_saveexec_b32 s4, s12
	v_mov_b32_e32 v6, 0
	s_xor_b32 exec_lo, exec_lo, s4
	s_cbranch_execz .LBB12_304
; %bb.303:                              ;   in Loop: Header=BB12_280 Depth=1
	global_load_dwordx2 v[12:13], v[14:15], off
	v_add_nc_u32_e32 v6, -8, v18
.LBB12_304:                             ;   in Loop: Header=BB12_280 Depth=1
	s_or_b32 exec_lo, exec_lo, s4
	v_add_co_u32 v18, s4, v16, 8
	v_add_co_ci_u32_e64 v19, null, 0, v17, s4
                                        ; implicit-def: $vgpr14_vgpr15
	s_mov_b32 s4, exec_lo
	v_cmpx_gt_u32_e32 8, v6
	s_xor_b32 s12, exec_lo, s4
	s_cbranch_execz .LBB12_310
; %bb.305:                              ;   in Loop: Header=BB12_280 Depth=1
	v_mov_b32_e32 v14, 0
	v_mov_b32_e32 v15, 0
	s_mov_b32 s13, exec_lo
	v_cmpx_ne_u32_e32 0, v6
	s_cbranch_execz .LBB12_309
; %bb.306:                              ;   in Loop: Header=BB12_280 Depth=1
	v_mov_b32_e32 v14, 0
	v_mov_b32_e32 v15, 0
	s_mov_b64 s[4:5], 0
	s_mov_b32 s17, 0
	s_mov_b64 s[10:11], 0
	.p2align	6
.LBB12_307:                             ;   Parent Loop BB12_280 Depth=1
                                        ; =>  This Inner Loop Header: Depth=2
	v_add_co_u32 v18, vcc_lo, v16, s10
	v_add_co_ci_u32_e64 v19, null, s11, v17, vcc_lo
	s_add_u32 s10, s10, 1
	s_addc_u32 s11, s11, 0
	v_cmp_eq_u32_e32 vcc_lo, s10, v6
	global_load_ubyte v18, v[18:19], off
	v_mov_b32_e32 v19, s16
	s_waitcnt vmcnt(0)
	v_and_b32_e32 v18, 0xffff, v18
	v_lshlrev_b64 v[18:19], s4, v[18:19]
	s_add_u32 s4, s4, 8
	s_addc_u32 s5, s5, 0
	s_or_b32 s17, vcc_lo, s17
	v_or_b32_e32 v15, v19, v15
	v_or_b32_e32 v14, v18, v14
	s_andn2_b32 exec_lo, exec_lo, s17
	s_cbranch_execnz .LBB12_307
; %bb.308:                              ;   in Loop: Header=BB12_280 Depth=1
	s_or_b32 exec_lo, exec_lo, s17
.LBB12_309:                             ;   in Loop: Header=BB12_280 Depth=1
	s_or_b32 exec_lo, exec_lo, s13
	v_mov_b32_e32 v19, v17
	v_mov_b32_e32 v18, v16
                                        ; implicit-def: $vgpr6
.LBB12_310:                             ;   in Loop: Header=BB12_280 Depth=1
	s_or_saveexec_b32 s4, s12
	v_mov_b32_e32 v22, 0
	s_xor_b32 exec_lo, exec_lo, s4
	s_cbranch_execz .LBB12_312
; %bb.311:                              ;   in Loop: Header=BB12_280 Depth=1
	global_load_dwordx2 v[14:15], v[16:17], off
	v_add_nc_u32_e32 v22, -8, v6
.LBB12_312:                             ;   in Loop: Header=BB12_280 Depth=1
	s_or_b32 exec_lo, exec_lo, s4
	v_add_co_u32 v20, s4, v18, 8
	v_add_co_ci_u32_e64 v21, null, 0, v19, s4
	s_mov_b32 s4, exec_lo
	v_cmpx_gt_u32_e32 8, v22
	s_xor_b32 s12, exec_lo, s4
	s_cbranch_execz .LBB12_318
; %bb.313:                              ;   in Loop: Header=BB12_280 Depth=1
	v_mov_b32_e32 v16, 0
	v_mov_b32_e32 v17, 0
	s_mov_b32 s13, exec_lo
	v_cmpx_ne_u32_e32 0, v22
	s_cbranch_execz .LBB12_317
; %bb.314:                              ;   in Loop: Header=BB12_280 Depth=1
	v_mov_b32_e32 v16, 0
	v_mov_b32_e32 v17, 0
	s_mov_b64 s[4:5], 0
	s_mov_b32 s17, 0
	s_mov_b64 s[10:11], 0
	.p2align	6
.LBB12_315:                             ;   Parent Loop BB12_280 Depth=1
                                        ; =>  This Inner Loop Header: Depth=2
	v_add_co_u32 v20, vcc_lo, v18, s10
	v_add_co_ci_u32_e64 v21, null, s11, v19, vcc_lo
	s_add_u32 s10, s10, 1
	s_addc_u32 s11, s11, 0
	v_cmp_eq_u32_e32 vcc_lo, s10, v22
	global_load_ubyte v6, v[20:21], off
	v_mov_b32_e32 v21, s16
	s_waitcnt vmcnt(0)
	v_and_b32_e32 v20, 0xffff, v6
	v_lshlrev_b64 v[20:21], s4, v[20:21]
	s_add_u32 s4, s4, 8
	s_addc_u32 s5, s5, 0
	s_or_b32 s17, vcc_lo, s17
	v_or_b32_e32 v17, v21, v17
	v_or_b32_e32 v16, v20, v16
	s_andn2_b32 exec_lo, exec_lo, s17
	s_cbranch_execnz .LBB12_315
; %bb.316:                              ;   in Loop: Header=BB12_280 Depth=1
	s_or_b32 exec_lo, exec_lo, s17
.LBB12_317:                             ;   in Loop: Header=BB12_280 Depth=1
	s_or_b32 exec_lo, exec_lo, s13
	v_mov_b32_e32 v21, v19
	v_mov_b32_e32 v20, v18
                                        ; implicit-def: $vgpr22
.LBB12_318:                             ;   in Loop: Header=BB12_280 Depth=1
	s_or_saveexec_b32 s4, s12
	v_mov_b32_e32 v6, 0
	s_xor_b32 exec_lo, exec_lo, s4
	s_cbranch_execz .LBB12_320
; %bb.319:                              ;   in Loop: Header=BB12_280 Depth=1
	global_load_dwordx2 v[16:17], v[18:19], off
	v_add_nc_u32_e32 v6, -8, v22
.LBB12_320:                             ;   in Loop: Header=BB12_280 Depth=1
	s_or_b32 exec_lo, exec_lo, s4
	v_add_co_u32 v22, s4, v20, 8
	v_add_co_ci_u32_e64 v23, null, 0, v21, s4
                                        ; implicit-def: $vgpr18_vgpr19
	s_mov_b32 s4, exec_lo
	v_cmpx_gt_u32_e32 8, v6
	s_xor_b32 s12, exec_lo, s4
	s_cbranch_execz .LBB12_326
; %bb.321:                              ;   in Loop: Header=BB12_280 Depth=1
	v_mov_b32_e32 v18, 0
	v_mov_b32_e32 v19, 0
	s_mov_b32 s13, exec_lo
	v_cmpx_ne_u32_e32 0, v6
	s_cbranch_execz .LBB12_325
; %bb.322:                              ;   in Loop: Header=BB12_280 Depth=1
	v_mov_b32_e32 v18, 0
	v_mov_b32_e32 v19, 0
	s_mov_b64 s[4:5], 0
	s_mov_b32 s17, 0
	s_mov_b64 s[10:11], 0
	.p2align	6
.LBB12_323:                             ;   Parent Loop BB12_280 Depth=1
                                        ; =>  This Inner Loop Header: Depth=2
	v_add_co_u32 v22, vcc_lo, v20, s10
	v_add_co_ci_u32_e64 v23, null, s11, v21, vcc_lo
	s_add_u32 s10, s10, 1
	s_addc_u32 s11, s11, 0
	v_cmp_eq_u32_e32 vcc_lo, s10, v6
	global_load_ubyte v22, v[22:23], off
	v_mov_b32_e32 v23, s16
	s_waitcnt vmcnt(0)
	v_and_b32_e32 v22, 0xffff, v22
	v_lshlrev_b64 v[22:23], s4, v[22:23]
	s_add_u32 s4, s4, 8
	s_addc_u32 s5, s5, 0
	s_or_b32 s17, vcc_lo, s17
	v_or_b32_e32 v19, v23, v19
	v_or_b32_e32 v18, v22, v18
	s_andn2_b32 exec_lo, exec_lo, s17
	s_cbranch_execnz .LBB12_323
; %bb.324:                              ;   in Loop: Header=BB12_280 Depth=1
	s_or_b32 exec_lo, exec_lo, s17
.LBB12_325:                             ;   in Loop: Header=BB12_280 Depth=1
	s_or_b32 exec_lo, exec_lo, s13
	v_mov_b32_e32 v23, v21
	v_mov_b32_e32 v22, v20
                                        ; implicit-def: $vgpr6
.LBB12_326:                             ;   in Loop: Header=BB12_280 Depth=1
	s_or_saveexec_b32 s4, s12
	v_mov_b32_e32 v24, 0
	s_xor_b32 exec_lo, exec_lo, s4
	s_cbranch_execz .LBB12_328
; %bb.327:                              ;   in Loop: Header=BB12_280 Depth=1
	global_load_dwordx2 v[18:19], v[20:21], off
	v_add_nc_u32_e32 v24, -8, v6
.LBB12_328:                             ;   in Loop: Header=BB12_280 Depth=1
	s_or_b32 exec_lo, exec_lo, s4
	s_mov_b32 s4, exec_lo
	v_cmpx_gt_u32_e32 8, v24
	s_xor_b32 s10, exec_lo, s4
	s_cbranch_execz .LBB12_334
; %bb.329:                              ;   in Loop: Header=BB12_280 Depth=1
	v_mov_b32_e32 v20, 0
	v_mov_b32_e32 v21, 0
	s_mov_b32 s11, exec_lo
	v_cmpx_ne_u32_e32 0, v24
	s_cbranch_execz .LBB12_333
; %bb.330:                              ;   in Loop: Header=BB12_280 Depth=1
	v_mov_b32_e32 v20, 0
	v_mov_b32_e32 v21, 0
	s_mov_b64 s[4:5], 0
	s_mov_b32 s12, 0
	.p2align	6
.LBB12_331:                             ;   Parent Loop BB12_280 Depth=1
                                        ; =>  This Inner Loop Header: Depth=2
	global_load_ubyte v6, v[22:23], off
	v_mov_b32_e32 v31, s16
	v_add_nc_u32_e32 v24, -1, v24
	v_add_co_u32 v22, vcc_lo, v22, 1
	v_add_co_ci_u32_e64 v23, null, 0, v23, vcc_lo
	v_cmp_eq_u32_e32 vcc_lo, 0, v24
	s_waitcnt vmcnt(0)
	v_and_b32_e32 v30, 0xffff, v6
	v_lshlrev_b64 v[30:31], s4, v[30:31]
	s_add_u32 s4, s4, 8
	s_addc_u32 s5, s5, 0
	s_or_b32 s12, vcc_lo, s12
	v_or_b32_e32 v21, v31, v21
	v_or_b32_e32 v20, v30, v20
	s_andn2_b32 exec_lo, exec_lo, s12
	s_cbranch_execnz .LBB12_331
; %bb.332:                              ;   in Loop: Header=BB12_280 Depth=1
	s_or_b32 exec_lo, exec_lo, s12
.LBB12_333:                             ;   in Loop: Header=BB12_280 Depth=1
	s_or_b32 exec_lo, exec_lo, s11
                                        ; implicit-def: $vgpr22_vgpr23
.LBB12_334:                             ;   in Loop: Header=BB12_280 Depth=1
	s_andn2_saveexec_b32 s4, s10
	s_cbranch_execz .LBB12_336
; %bb.335:                              ;   in Loop: Header=BB12_280 Depth=1
	global_load_dwordx2 v[20:21], v[22:23], off
.LBB12_336:                             ;   in Loop: Header=BB12_280 Depth=1
	s_or_b32 exec_lo, exec_lo, s4
	v_readfirstlane_b32 s4, v32
	v_mov_b32_e32 v30, 0
	v_mov_b32_e32 v31, 0
	v_cmp_eq_u32_e64 s4, s4, v32
	s_and_saveexec_b32 s5, s4
	s_cbranch_execz .LBB12_342
; %bb.337:                              ;   in Loop: Header=BB12_280 Depth=1
	global_load_dwordx2 v[24:25], v7, s[6:7] offset:24 glc dlc
	s_waitcnt vmcnt(0)
	buffer_gl1_inv
	buffer_gl0_inv
	s_clause 0x1
	global_load_dwordx2 v[22:23], v7, s[6:7] offset:40
	global_load_dwordx2 v[30:31], v7, s[6:7]
	s_mov_b32 s10, exec_lo
	s_waitcnt vmcnt(1)
	v_and_b32_e32 v6, v23, v25
	v_and_b32_e32 v22, v22, v24
	v_mul_lo_u32 v6, v6, 24
	v_mul_hi_u32 v23, v22, 24
	v_mul_lo_u32 v22, v22, 24
	v_add_nc_u32_e32 v6, v23, v6
	s_waitcnt vmcnt(0)
	v_add_co_u32 v22, vcc_lo, v30, v22
	v_add_co_ci_u32_e64 v23, null, v31, v6, vcc_lo
	global_load_dwordx2 v[22:23], v[22:23], off glc dlc
	s_waitcnt vmcnt(0)
	global_atomic_cmpswap_x2 v[30:31], v7, v[22:25], s[6:7] offset:24 glc
	s_waitcnt vmcnt(0)
	buffer_gl1_inv
	buffer_gl0_inv
	v_cmpx_ne_u64_e64 v[30:31], v[24:25]
	s_cbranch_execz .LBB12_341
; %bb.338:                              ;   in Loop: Header=BB12_280 Depth=1
	s_mov_b32 s11, 0
	.p2align	6
.LBB12_339:                             ;   Parent Loop BB12_280 Depth=1
                                        ; =>  This Inner Loop Header: Depth=2
	s_sleep 1
	s_clause 0x1
	global_load_dwordx2 v[22:23], v7, s[6:7] offset:40
	global_load_dwordx2 v[35:36], v7, s[6:7]
	v_mov_b32_e32 v24, v30
	v_mov_b32_e32 v25, v31
	s_waitcnt vmcnt(1)
	v_and_b32_e32 v6, v22, v24
	v_and_b32_e32 v22, v23, v25
	s_waitcnt vmcnt(0)
	v_mad_u64_u32 v[30:31], null, v6, 24, v[35:36]
	v_mov_b32_e32 v6, v31
	v_mad_u64_u32 v[22:23], null, v22, 24, v[6:7]
	v_mov_b32_e32 v31, v22
	global_load_dwordx2 v[22:23], v[30:31], off glc dlc
	s_waitcnt vmcnt(0)
	global_atomic_cmpswap_x2 v[30:31], v7, v[22:25], s[6:7] offset:24 glc
	s_waitcnt vmcnt(0)
	buffer_gl1_inv
	buffer_gl0_inv
	v_cmp_eq_u64_e32 vcc_lo, v[30:31], v[24:25]
	s_or_b32 s11, vcc_lo, s11
	s_andn2_b32 exec_lo, exec_lo, s11
	s_cbranch_execnz .LBB12_339
; %bb.340:                              ;   in Loop: Header=BB12_280 Depth=1
	s_or_b32 exec_lo, exec_lo, s11
.LBB12_341:                             ;   in Loop: Header=BB12_280 Depth=1
	s_or_b32 exec_lo, exec_lo, s10
.LBB12_342:                             ;   in Loop: Header=BB12_280 Depth=1
	s_or_b32 exec_lo, exec_lo, s5
	s_clause 0x1
	global_load_dwordx2 v[35:36], v7, s[6:7] offset:40
	global_load_dwordx4 v[22:25], v7, s[6:7]
	v_readfirstlane_b32 s11, v31
	v_readfirstlane_b32 s10, v30
	s_mov_b32 s5, exec_lo
	s_waitcnt vmcnt(1)
	v_readfirstlane_b32 s12, v35
	v_readfirstlane_b32 s13, v36
	s_and_b64 s[12:13], s[12:13], s[10:11]
	s_mul_i32 s17, s13, 24
	s_mul_hi_u32 s18, s12, 24
	s_mul_i32 s19, s12, 24
	s_add_i32 s18, s18, s17
	s_waitcnt vmcnt(0)
	v_add_co_u32 v30, vcc_lo, v22, s19
	v_add_co_ci_u32_e64 v31, null, s18, v23, vcc_lo
	s_and_saveexec_b32 s17, s4
	s_cbranch_execz .LBB12_344
; %bb.343:                              ;   in Loop: Header=BB12_280 Depth=1
	v_mov_b32_e32 v6, s5
	global_store_dwordx4 v[30:31], v[6:9], off offset:8
.LBB12_344:                             ;   in Loop: Header=BB12_280 Depth=1
	s_or_b32 exec_lo, exec_lo, s17
	v_cmp_gt_u64_e32 vcc_lo, 57, v[26:27]
	s_lshl_b64 s[12:13], s[12:13], 12
	v_and_b32_e32 v0, 0xffffff1f, v0
	v_lshl_add_u32 v35, v28, 2, 28
	v_cndmask_b32_e32 v6, 0, v34, vcc_lo
	v_add_co_u32 v24, vcc_lo, v24, s12
	v_add_co_ci_u32_e64 v25, null, s13, v25, vcc_lo
	v_or_b32_e32 v0, v0, v6
	v_readfirstlane_b32 s12, v24
	v_readfirstlane_b32 s13, v25
	v_and_or_b32 v0, 0x1e0, v35, v0
	global_store_dwordx4 v33, v[10:13], s[12:13] offset:16
	global_store_dwordx4 v33, v[14:17], s[12:13] offset:32
	global_store_dwordx4 v33, v[0:3], s[12:13]
	global_store_dwordx4 v33, v[18:21], s[12:13] offset:48
	s_and_saveexec_b32 s5, s4
	s_cbranch_execz .LBB12_352
; %bb.345:                              ;   in Loop: Header=BB12_280 Depth=1
	s_clause 0x1
	global_load_dwordx2 v[14:15], v7, s[6:7] offset:32 glc dlc
	global_load_dwordx2 v[0:1], v7, s[6:7] offset:40
	v_mov_b32_e32 v12, s10
	v_mov_b32_e32 v13, s11
	s_waitcnt vmcnt(0)
	v_readfirstlane_b32 s12, v0
	v_readfirstlane_b32 s13, v1
	s_and_b64 s[12:13], s[12:13], s[10:11]
	s_mul_i32 s13, s13, 24
	s_mul_hi_u32 s17, s12, 24
	s_mul_i32 s12, s12, 24
	s_add_i32 s17, s17, s13
	v_add_co_u32 v10, vcc_lo, v22, s12
	v_add_co_ci_u32_e64 v11, null, s17, v23, vcc_lo
	s_mov_b32 s12, exec_lo
	global_store_dwordx2 v[10:11], v[14:15], off
	s_waitcnt_vscnt null, 0x0
	global_atomic_cmpswap_x2 v[2:3], v7, v[12:15], s[6:7] offset:32 glc
	s_waitcnt vmcnt(0)
	v_cmpx_ne_u64_e64 v[2:3], v[14:15]
	s_cbranch_execz .LBB12_348
; %bb.346:                              ;   in Loop: Header=BB12_280 Depth=1
	s_mov_b32 s13, 0
.LBB12_347:                             ;   Parent Loop BB12_280 Depth=1
                                        ; =>  This Inner Loop Header: Depth=2
	v_mov_b32_e32 v0, s10
	v_mov_b32_e32 v1, s11
	s_sleep 1
	global_store_dwordx2 v[10:11], v[2:3], off
	s_waitcnt_vscnt null, 0x0
	global_atomic_cmpswap_x2 v[0:1], v7, v[0:3], s[6:7] offset:32 glc
	s_waitcnt vmcnt(0)
	v_cmp_eq_u64_e32 vcc_lo, v[0:1], v[2:3]
	v_mov_b32_e32 v3, v1
	v_mov_b32_e32 v2, v0
	s_or_b32 s13, vcc_lo, s13
	s_andn2_b32 exec_lo, exec_lo, s13
	s_cbranch_execnz .LBB12_347
.LBB12_348:                             ;   in Loop: Header=BB12_280 Depth=1
	s_or_b32 exec_lo, exec_lo, s12
	global_load_dwordx2 v[0:1], v7, s[6:7] offset:16
	s_mov_b32 s13, exec_lo
	s_mov_b32 s12, exec_lo
	v_mbcnt_lo_u32_b32 v2, s13, 0
	v_cmpx_eq_u32_e32 0, v2
	s_cbranch_execz .LBB12_350
; %bb.349:                              ;   in Loop: Header=BB12_280 Depth=1
	s_bcnt1_i32_b32 s13, s13
	v_mov_b32_e32 v6, s13
	s_waitcnt vmcnt(0)
	global_atomic_add_x2 v[0:1], v[6:7], off offset:8
.LBB12_350:                             ;   in Loop: Header=BB12_280 Depth=1
	s_or_b32 exec_lo, exec_lo, s12
	s_waitcnt vmcnt(0)
	global_load_dwordx2 v[2:3], v[0:1], off offset:16
	s_waitcnt vmcnt(0)
	v_cmp_eq_u64_e32 vcc_lo, 0, v[2:3]
	s_cbranch_vccnz .LBB12_352
; %bb.351:                              ;   in Loop: Header=BB12_280 Depth=1
	global_load_dword v6, v[0:1], off offset:24
	s_waitcnt vmcnt(0)
	v_readfirstlane_b32 s12, v6
	s_waitcnt_vscnt null, 0x0
	global_store_dwordx2 v[2:3], v[6:7], off
	s_and_b32 m0, s12, 0x7fffff
	s_sendmsg sendmsg(MSG_INTERRUPT)
.LBB12_352:                             ;   in Loop: Header=BB12_280 Depth=1
	s_or_b32 exec_lo, exec_lo, s5
	v_add_co_u32 v0, vcc_lo, v24, v33
	v_add_co_ci_u32_e64 v1, null, 0, v25, vcc_lo
	s_branch .LBB12_356
	.p2align	6
.LBB12_353:                             ;   in Loop: Header=BB12_356 Depth=2
	s_or_b32 exec_lo, exec_lo, s5
	v_readfirstlane_b32 s5, v2
	s_cmp_eq_u32 s5, 0
	s_cbranch_scc1 .LBB12_355
; %bb.354:                              ;   in Loop: Header=BB12_356 Depth=2
	s_sleep 1
	s_cbranch_execnz .LBB12_356
	s_branch .LBB12_358
	.p2align	6
.LBB12_355:                             ;   in Loop: Header=BB12_280 Depth=1
	s_branch .LBB12_358
.LBB12_356:                             ;   Parent Loop BB12_280 Depth=1
                                        ; =>  This Inner Loop Header: Depth=2
	v_mov_b32_e32 v2, 1
	s_and_saveexec_b32 s5, s4
	s_cbranch_execz .LBB12_353
; %bb.357:                              ;   in Loop: Header=BB12_356 Depth=2
	global_load_dword v2, v[30:31], off offset:20 glc dlc
	s_waitcnt vmcnt(0)
	buffer_gl1_inv
	buffer_gl0_inv
	v_and_b32_e32 v2, 1, v2
	s_branch .LBB12_353
.LBB12_358:                             ;   in Loop: Header=BB12_280 Depth=1
	global_load_dwordx2 v[0:1], v[0:1], off
	s_and_saveexec_b32 s12, s4
	s_cbranch_execz .LBB12_279
; %bb.359:                              ;   in Loop: Header=BB12_280 Depth=1
	s_clause 0x2
	global_load_dwordx2 v[2:3], v7, s[6:7] offset:40
	global_load_dwordx2 v[14:15], v7, s[6:7] offset:24 glc dlc
	global_load_dwordx2 v[10:11], v7, s[6:7]
	s_waitcnt vmcnt(2)
	v_readfirstlane_b32 s18, v2
	v_readfirstlane_b32 s19, v3
	s_add_u32 s13, s18, 1
	s_addc_u32 s17, s19, 0
	s_add_u32 s4, s13, s10
	s_addc_u32 s5, s17, s11
	s_cmp_eq_u64 s[4:5], 0
	s_cselect_b32 s5, s17, s5
	s_cselect_b32 s4, s13, s4
	v_mov_b32_e32 v13, s5
	s_and_b64 s[10:11], s[4:5], s[18:19]
	v_mov_b32_e32 v12, s4
	s_mul_i32 s11, s11, 24
	s_mul_hi_u32 s13, s10, 24
	s_mul_i32 s10, s10, 24
	s_add_i32 s13, s13, s11
	s_waitcnt vmcnt(0)
	v_add_co_u32 v2, vcc_lo, v10, s10
	v_add_co_ci_u32_e64 v3, null, s13, v11, vcc_lo
	global_store_dwordx2 v[2:3], v[14:15], off
	s_waitcnt_vscnt null, 0x0
	global_atomic_cmpswap_x2 v[12:13], v7, v[12:15], s[6:7] offset:24 glc
	s_waitcnt vmcnt(0)
	v_cmp_ne_u64_e32 vcc_lo, v[12:13], v[14:15]
	s_and_b32 exec_lo, exec_lo, vcc_lo
	s_cbranch_execz .LBB12_279
; %bb.360:                              ;   in Loop: Header=BB12_280 Depth=1
	s_mov_b32 s10, 0
.LBB12_361:                             ;   Parent Loop BB12_280 Depth=1
                                        ; =>  This Inner Loop Header: Depth=2
	v_mov_b32_e32 v10, s4
	v_mov_b32_e32 v11, s5
	s_sleep 1
	global_store_dwordx2 v[2:3], v[12:13], off
	s_waitcnt_vscnt null, 0x0
	global_atomic_cmpswap_x2 v[10:11], v7, v[10:13], s[6:7] offset:24 glc
	s_waitcnt vmcnt(0)
	v_cmp_eq_u64_e32 vcc_lo, v[10:11], v[12:13]
	v_mov_b32_e32 v13, v11
	v_mov_b32_e32 v12, v10
	s_or_b32 s10, vcc_lo, s10
	s_andn2_b32 exec_lo, exec_lo, s10
	s_cbranch_execnz .LBB12_361
	s_branch .LBB12_279
.LBB12_362:
	s_or_b32 exec_lo, exec_lo, s15
                                        ; implicit-def: $vgpr33
                                        ; implicit-def: $vgpr32
.LBB12_363:
	s_andn2_saveexec_b32 s14, s14
	s_cbranch_execz .LBB12_391
; %bb.364:
	v_readfirstlane_b32 s4, v32
	v_mov_b32_e32 v8, 0
	v_mov_b32_e32 v9, 0
	v_cmp_eq_u32_e64 s4, s4, v32
	s_and_saveexec_b32 s5, s4
	s_cbranch_execz .LBB12_370
; %bb.365:
	v_mov_b32_e32 v2, 0
	s_mov_b32 s10, exec_lo
	global_load_dwordx2 v[5:6], v2, s[6:7] offset:24 glc dlc
	s_waitcnt vmcnt(0)
	buffer_gl1_inv
	buffer_gl0_inv
	s_clause 0x1
	global_load_dwordx2 v[3:4], v2, s[6:7] offset:40
	global_load_dwordx2 v[7:8], v2, s[6:7]
	s_waitcnt vmcnt(1)
	v_and_b32_e32 v4, v4, v6
	v_and_b32_e32 v3, v3, v5
	v_mul_lo_u32 v4, v4, 24
	v_mul_hi_u32 v9, v3, 24
	v_mul_lo_u32 v3, v3, 24
	v_add_nc_u32_e32 v4, v9, v4
	s_waitcnt vmcnt(0)
	v_add_co_u32 v3, vcc_lo, v7, v3
	v_add_co_ci_u32_e64 v4, null, v8, v4, vcc_lo
	global_load_dwordx2 v[3:4], v[3:4], off glc dlc
	s_waitcnt vmcnt(0)
	global_atomic_cmpswap_x2 v[8:9], v2, v[3:6], s[6:7] offset:24 glc
	s_waitcnt vmcnt(0)
	buffer_gl1_inv
	buffer_gl0_inv
	v_cmpx_ne_u64_e64 v[8:9], v[5:6]
	s_cbranch_execz .LBB12_369
; %bb.366:
	s_mov_b32 s11, 0
	.p2align	6
.LBB12_367:                             ; =>This Inner Loop Header: Depth=1
	s_sleep 1
	s_clause 0x1
	global_load_dwordx2 v[3:4], v2, s[6:7] offset:40
	global_load_dwordx2 v[10:11], v2, s[6:7]
	v_mov_b32_e32 v5, v8
	v_mov_b32_e32 v6, v9
	s_waitcnt vmcnt(1)
	v_and_b32_e32 v3, v3, v5
	v_and_b32_e32 v4, v4, v6
	s_waitcnt vmcnt(0)
	v_mad_u64_u32 v[7:8], null, v3, 24, v[10:11]
	v_mov_b32_e32 v3, v8
	v_mad_u64_u32 v[3:4], null, v4, 24, v[3:4]
	v_mov_b32_e32 v8, v3
	global_load_dwordx2 v[3:4], v[7:8], off glc dlc
	s_waitcnt vmcnt(0)
	global_atomic_cmpswap_x2 v[8:9], v2, v[3:6], s[6:7] offset:24 glc
	s_waitcnt vmcnt(0)
	buffer_gl1_inv
	buffer_gl0_inv
	v_cmp_eq_u64_e32 vcc_lo, v[8:9], v[5:6]
	s_or_b32 s11, vcc_lo, s11
	s_andn2_b32 exec_lo, exec_lo, s11
	s_cbranch_execnz .LBB12_367
; %bb.368:
	s_or_b32 exec_lo, exec_lo, s11
.LBB12_369:
	s_or_b32 exec_lo, exec_lo, s10
.LBB12_370:
	s_or_b32 exec_lo, exec_lo, s5
	v_mov_b32_e32 v2, 0
	v_readfirstlane_b32 s11, v9
	v_readfirstlane_b32 s10, v8
	s_mov_b32 s5, exec_lo
	s_clause 0x1
	global_load_dwordx2 v[10:11], v2, s[6:7] offset:40
	global_load_dwordx4 v[4:7], v2, s[6:7]
	s_waitcnt vmcnt(1)
	v_readfirstlane_b32 s12, v10
	v_readfirstlane_b32 s13, v11
	s_and_b64 s[12:13], s[12:13], s[10:11]
	s_mul_i32 s15, s13, 24
	s_mul_hi_u32 s16, s12, 24
	s_mul_i32 s17, s12, 24
	s_add_i32 s16, s16, s15
	s_waitcnt vmcnt(0)
	v_add_co_u32 v8, vcc_lo, v4, s17
	v_add_co_ci_u32_e64 v9, null, s16, v5, vcc_lo
	s_and_saveexec_b32 s15, s4
	s_cbranch_execz .LBB12_372
; %bb.371:
	v_mov_b32_e32 v10, s5
	v_mov_b32_e32 v11, v2
	;; [unrolled: 1-line block ×4, first 2 shown]
	global_store_dwordx4 v[8:9], v[10:13], off offset:8
.LBB12_372:
	s_or_b32 exec_lo, exec_lo, s15
	s_lshl_b64 s[12:13], s[12:13], 12
	s_mov_b32 s16, 0
	v_add_co_u32 v6, vcc_lo, v6, s12
	v_add_co_ci_u32_e64 v7, null, s13, v7, vcc_lo
	s_mov_b32 s17, s16
	v_readfirstlane_b32 s12, v6
	v_add_co_u32 v6, vcc_lo, v6, v33
	s_mov_b32 s18, s16
	s_mov_b32 s19, s16
	v_and_or_b32 v0, 0xffffff1f, v0, 32
	v_mov_b32_e32 v3, v2
	v_readfirstlane_b32 s13, v7
	v_mov_b32_e32 v10, s16
	v_add_co_ci_u32_e64 v7, null, 0, v7, vcc_lo
	v_mov_b32_e32 v11, s17
	v_mov_b32_e32 v12, s18
	;; [unrolled: 1-line block ×3, first 2 shown]
	global_store_dwordx4 v33, v[0:3], s[12:13]
	global_store_dwordx4 v33, v[10:13], s[12:13] offset:16
	global_store_dwordx4 v33, v[10:13], s[12:13] offset:32
	;; [unrolled: 1-line block ×3, first 2 shown]
	s_and_saveexec_b32 s5, s4
	s_cbranch_execz .LBB12_380
; %bb.373:
	v_mov_b32_e32 v10, 0
	v_mov_b32_e32 v11, s10
	;; [unrolled: 1-line block ×3, first 2 shown]
	s_clause 0x1
	global_load_dwordx2 v[13:14], v10, s[6:7] offset:32 glc dlc
	global_load_dwordx2 v[0:1], v10, s[6:7] offset:40
	s_waitcnt vmcnt(0)
	v_readfirstlane_b32 s12, v0
	v_readfirstlane_b32 s13, v1
	s_and_b64 s[12:13], s[12:13], s[10:11]
	s_mul_i32 s13, s13, 24
	s_mul_hi_u32 s15, s12, 24
	s_mul_i32 s12, s12, 24
	s_add_i32 s15, s15, s13
	v_add_co_u32 v4, vcc_lo, v4, s12
	v_add_co_ci_u32_e64 v5, null, s15, v5, vcc_lo
	s_mov_b32 s12, exec_lo
	global_store_dwordx2 v[4:5], v[13:14], off
	s_waitcnt_vscnt null, 0x0
	global_atomic_cmpswap_x2 v[2:3], v10, v[11:14], s[6:7] offset:32 glc
	s_waitcnt vmcnt(0)
	v_cmpx_ne_u64_e64 v[2:3], v[13:14]
	s_cbranch_execz .LBB12_376
; %bb.374:
	s_mov_b32 s13, 0
.LBB12_375:                             ; =>This Inner Loop Header: Depth=1
	v_mov_b32_e32 v0, s10
	v_mov_b32_e32 v1, s11
	s_sleep 1
	global_store_dwordx2 v[4:5], v[2:3], off
	s_waitcnt_vscnt null, 0x0
	global_atomic_cmpswap_x2 v[0:1], v10, v[0:3], s[6:7] offset:32 glc
	s_waitcnt vmcnt(0)
	v_cmp_eq_u64_e32 vcc_lo, v[0:1], v[2:3]
	v_mov_b32_e32 v3, v1
	v_mov_b32_e32 v2, v0
	s_or_b32 s13, vcc_lo, s13
	s_andn2_b32 exec_lo, exec_lo, s13
	s_cbranch_execnz .LBB12_375
.LBB12_376:
	s_or_b32 exec_lo, exec_lo, s12
	v_mov_b32_e32 v3, 0
	s_mov_b32 s13, exec_lo
	s_mov_b32 s12, exec_lo
	v_mbcnt_lo_u32_b32 v2, s13, 0
	global_load_dwordx2 v[0:1], v3, s[6:7] offset:16
	v_cmpx_eq_u32_e32 0, v2
	s_cbranch_execz .LBB12_378
; %bb.377:
	s_bcnt1_i32_b32 s13, s13
	v_mov_b32_e32 v2, s13
	s_waitcnt vmcnt(0)
	global_atomic_add_x2 v[0:1], v[2:3], off offset:8
.LBB12_378:
	s_or_b32 exec_lo, exec_lo, s12
	s_waitcnt vmcnt(0)
	global_load_dwordx2 v[2:3], v[0:1], off offset:16
	s_waitcnt vmcnt(0)
	v_cmp_eq_u64_e32 vcc_lo, 0, v[2:3]
	s_cbranch_vccnz .LBB12_380
; %bb.379:
	global_load_dword v0, v[0:1], off offset:24
	v_mov_b32_e32 v1, 0
	s_waitcnt vmcnt(0)
	v_readfirstlane_b32 s12, v0
	s_waitcnt_vscnt null, 0x0
	global_store_dwordx2 v[2:3], v[0:1], off
	s_and_b32 m0, s12, 0x7fffff
	s_sendmsg sendmsg(MSG_INTERRUPT)
.LBB12_380:
	s_or_b32 exec_lo, exec_lo, s5
	s_branch .LBB12_384
	.p2align	6
.LBB12_381:                             ;   in Loop: Header=BB12_384 Depth=1
	s_or_b32 exec_lo, exec_lo, s5
	v_readfirstlane_b32 s5, v0
	s_cmp_eq_u32 s5, 0
	s_cbranch_scc1 .LBB12_383
; %bb.382:                              ;   in Loop: Header=BB12_384 Depth=1
	s_sleep 1
	s_cbranch_execnz .LBB12_384
	s_branch .LBB12_386
	.p2align	6
.LBB12_383:
	s_branch .LBB12_386
.LBB12_384:                             ; =>This Inner Loop Header: Depth=1
	v_mov_b32_e32 v0, 1
	s_and_saveexec_b32 s5, s4
	s_cbranch_execz .LBB12_381
; %bb.385:                              ;   in Loop: Header=BB12_384 Depth=1
	global_load_dword v0, v[8:9], off offset:20 glc dlc
	s_waitcnt vmcnt(0)
	buffer_gl1_inv
	buffer_gl0_inv
	v_and_b32_e32 v0, 1, v0
	s_branch .LBB12_381
.LBB12_386:
	global_load_dwordx2 v[0:1], v[6:7], off
	s_and_saveexec_b32 s12, s4
	s_cbranch_execz .LBB12_390
; %bb.387:
	v_mov_b32_e32 v8, 0
	s_clause 0x2
	global_load_dwordx2 v[2:3], v8, s[6:7] offset:40
	global_load_dwordx2 v[11:12], v8, s[6:7] offset:24 glc dlc
	global_load_dwordx2 v[4:5], v8, s[6:7]
	s_waitcnt vmcnt(2)
	v_readfirstlane_b32 s16, v2
	v_readfirstlane_b32 s17, v3
	s_add_u32 s13, s16, 1
	s_addc_u32 s15, s17, 0
	s_add_u32 s4, s13, s10
	s_addc_u32 s5, s15, s11
	s_cmp_eq_u64 s[4:5], 0
	s_cselect_b32 s5, s15, s5
	s_cselect_b32 s4, s13, s4
	v_mov_b32_e32 v10, s5
	s_and_b64 s[10:11], s[4:5], s[16:17]
	v_mov_b32_e32 v9, s4
	s_mul_i32 s11, s11, 24
	s_mul_hi_u32 s13, s10, 24
	s_mul_i32 s10, s10, 24
	s_add_i32 s13, s13, s11
	s_waitcnt vmcnt(0)
	v_add_co_u32 v6, vcc_lo, v4, s10
	v_add_co_ci_u32_e64 v7, null, s13, v5, vcc_lo
	global_store_dwordx2 v[6:7], v[11:12], off
	s_waitcnt_vscnt null, 0x0
	global_atomic_cmpswap_x2 v[4:5], v8, v[9:12], s[6:7] offset:24 glc
	s_waitcnt vmcnt(0)
	v_cmp_ne_u64_e32 vcc_lo, v[4:5], v[11:12]
	s_and_b32 exec_lo, exec_lo, vcc_lo
	s_cbranch_execz .LBB12_390
; %bb.388:
	s_mov_b32 s10, 0
.LBB12_389:                             ; =>This Inner Loop Header: Depth=1
	v_mov_b32_e32 v2, s4
	v_mov_b32_e32 v3, s5
	s_sleep 1
	global_store_dwordx2 v[6:7], v[4:5], off
	s_waitcnt_vscnt null, 0x0
	global_atomic_cmpswap_x2 v[2:3], v8, v[2:5], s[6:7] offset:24 glc
	s_waitcnt vmcnt(0)
	v_cmp_eq_u64_e32 vcc_lo, v[2:3], v[4:5]
	v_mov_b32_e32 v5, v3
	v_mov_b32_e32 v4, v2
	s_or_b32 s10, vcc_lo, s10
	s_andn2_b32 exec_lo, exec_lo, s10
	s_cbranch_execnz .LBB12_389
.LBB12_390:
	s_or_b32 exec_lo, exec_lo, s12
.LBB12_391:
	s_or_b32 exec_lo, exec_lo, s14
	s_getpc_b64 s[4:5]
	s_add_u32 s4, s4, .str.5@rel32@lo+4
	s_addc_u32 s5, s5, .str.5@rel32@hi+12
	s_getpc_b64 s[6:7]
	s_add_u32 s6, s6, .str.5@rel32@lo+65
	s_addc_u32 s7, s7, .str.5@rel32@hi+73
	s_sub_i32 s10, s6, s4
	s_getpc_b64 s[6:7]
	s_add_u32 s6, s6, __ockl_fprintf_append_string_n@rel32@lo+4
	s_addc_u32 s7, s7, __ockl_fprintf_append_string_n@rel32@hi+12
	s_ashr_i32 s11, s10, 31
	v_mov_b32_e32 v2, s4
	v_mov_b32_e32 v3, s5
	;; [unrolled: 1-line block ×5, first 2 shown]
	s_swappc_b64 s[30:31], s[6:7]
	s_trap 2
.Lfunc_end12:
	.size	__assert_fail, .Lfunc_end12-__assert_fail
                                        ; -- End function
	.set .L__assert_fail.num_vgpr, max(40, .L__ockl_fprintf_append_string_n.num_vgpr)
	.set .L__assert_fail.num_agpr, max(0, .L__ockl_fprintf_append_string_n.num_agpr)
	.set .L__assert_fail.numbered_sgpr, max(34, .L__ockl_fprintf_append_string_n.numbered_sgpr)
	.set .L__assert_fail.num_named_barrier, max(0, .L__ockl_fprintf_append_string_n.num_named_barrier)
	.set .L__assert_fail.private_seg_size, 64+max(.L__ockl_fprintf_append_string_n.private_seg_size)
	.set .L__assert_fail.uses_vcc, or(1, .L__ockl_fprintf_append_string_n.uses_vcc)
	.set .L__assert_fail.uses_flat_scratch, or(0, .L__ockl_fprintf_append_string_n.uses_flat_scratch)
	.set .L__assert_fail.has_dyn_sized_stack, or(0, .L__ockl_fprintf_append_string_n.has_dyn_sized_stack)
	.set .L__assert_fail.has_recursion, or(0, .L__ockl_fprintf_append_string_n.has_recursion)
	.set .L__assert_fail.has_indirect_call, or(0, .L__ockl_fprintf_append_string_n.has_indirect_call)
	.section	.AMDGPU.csdata,"",@progbits
; Function info:
; codeLenInByte = 15432
; TotalNumSgprs: 36
; NumVgprs: 40
; ScratchSize: 64
; MemoryBound: 0
	.section	.text._ZN9rocsolver6v33100L14bdsqr_finalizeIffPfS2_S2_EEviiiiPT0_lS4_lT1_iilT2_iilT3_iilPiS8_S8_,"axG",@progbits,_ZN9rocsolver6v33100L14bdsqr_finalizeIffPfS2_S2_EEviiiiPT0_lS4_lT1_iilT2_iilT3_iilPiS8_S8_,comdat
	.globl	_ZN9rocsolver6v33100L14bdsqr_finalizeIffPfS2_S2_EEviiiiPT0_lS4_lT1_iilT2_iilT3_iilPiS8_S8_ ; -- Begin function _ZN9rocsolver6v33100L14bdsqr_finalizeIffPfS2_S2_EEviiiiPT0_lS4_lT1_iilT2_iilT3_iilPiS8_S8_
	.p2align	8
	.type	_ZN9rocsolver6v33100L14bdsqr_finalizeIffPfS2_S2_EEviiiiPT0_lS4_lT1_iilT2_iilT3_iilPiS8_S8_,@function
_ZN9rocsolver6v33100L14bdsqr_finalizeIffPfS2_S2_EEviiiiPT0_lS4_lT1_iilT2_iilT3_iilPiS8_S8_: ; @_ZN9rocsolver6v33100L14bdsqr_finalizeIffPfS2_S2_EEviiiiPT0_lS4_lT1_iilT2_iilT3_iilPiS8_S8_
; %bb.0:
	s_add_u32 s6, s6, s10
	s_mov_b32 s32, 0
	s_addc_u32 s7, s7, 0
	s_setreg_b32 hwreg(HW_REG_FLAT_SCR_LO), s6
	s_setreg_b32 hwreg(HW_REG_FLAT_SCR_HI), s7
	s_load_dwordx8 s[36:43], s[4:5], 0x70
	s_add_u32 s0, s0, s10
	s_addc_u32 s1, s1, 0
	s_mov_b32 s12, s9
	s_ashr_i32 s13, s9, 31
	s_lshl_b64 s[26:27], s[12:13], 2
	s_waitcnt lgkmcnt(0)
	s_add_u32 s6, s42, s26
	s_addc_u32 s7, s43, s27
	s_load_dword s6, s[6:7], 0x8
	s_waitcnt lgkmcnt(0)
	s_cmp_gt_i32 s6, 1
	s_cbranch_scc1 .LBB13_310
; %bb.1:
	s_clause 0x2
	s_load_dwordx2 s[6:7], s[4:5], 0x9c
	s_load_dwordx8 s[44:51], s[4:5], 0x30
	s_load_dwordx8 s[52:59], s[4:5], 0x10
	s_mov_b64 s[28:29], 0
	s_mov_b64 s[34:35], 0
	s_waitcnt lgkmcnt(0)
	s_and_b32 s7, s7, 0xffff
	s_cmp_eq_u64 s[44:45], 0
	s_cbranch_scc1 .LBB13_3
; %bb.2:
	s_mul_i32 s8, s48, s13
	s_mul_hi_u32 s9, s48, s12
	s_mul_i32 s10, s49, s12
	s_add_i32 s8, s9, s8
	s_ashr_i32 s11, s46, 31
	s_add_i32 s9, s8, s10
	s_mul_i32 s8, s48, s12
	s_mov_b32 s10, s46
	s_lshl_b64 s[8:9], s[8:9], 2
	s_add_u32 s14, s44, s8
	s_addc_u32 s15, s45, s9
	s_lshl_b64 s[8:9], s[10:11], 2
	s_add_u32 s34, s14, s8
	s_addc_u32 s35, s15, s9
.LBB13_3:
	s_clause 0x1
	s_load_dwordx2 s[42:43], s[4:5], 0x50
	s_load_dwordx4 s[8:11], s[4:5], 0x58
	s_cmp_eq_u64 s[50:51], 0
	s_cbranch_scc1 .LBB13_5
; %bb.4:
	s_waitcnt lgkmcnt(0)
	s_mul_i32 s14, s8, s13
	s_mul_hi_u32 s15, s8, s12
	s_mul_i32 s9, s9, s12
	s_add_i32 s14, s15, s14
	s_mul_i32 s8, s8, s12
	s_add_i32 s9, s14, s9
	s_ashr_i32 s15, s42, 31
	s_lshl_b64 s[8:9], s[8:9], 2
	s_mov_b32 s14, s42
	s_add_u32 s16, s50, s8
	s_addc_u32 s17, s51, s9
	s_lshl_b64 s[8:9], s[14:15], 2
	s_add_u32 s28, s16, s8
	s_addc_u32 s29, s17, s9
.LBB13_5:
	s_load_dwordx2 s[60:61], s[4:5], 0x68
	s_waitcnt lgkmcnt(0)
	s_cmp_eq_u64 s[10:11], 0
	s_mov_b64 s[44:45], 0
	s_cbranch_scc1 .LBB13_7
; %bb.6:
	s_mul_i32 s8, s36, s13
	s_mul_hi_u32 s9, s36, s12
	s_mul_i32 s14, s37, s12
	s_add_i32 s8, s9, s8
	s_ashr_i32 s15, s60, 31
	s_add_i32 s9, s8, s14
	s_mul_i32 s8, s36, s12
	s_mov_b32 s14, s60
	s_lshl_b64 s[8:9], s[8:9], 2
	s_add_u32 s10, s10, s8
	s_addc_u32 s11, s11, s9
	s_lshl_b64 s[8:9], s[14:15], 2
	s_add_u32 s44, s10, s8
	s_addc_u32 s45, s11, s9
.LBB13_7:
	s_mul_i32 s8, s54, s13
	s_mul_hi_u32 s9, s54, s12
	s_mul_i32 s10, s55, s12
	s_add_i32 s9, s9, s8
	s_mul_i32 s8, s54, s12
	s_add_i32 s9, s9, s10
	s_load_dwordx4 s[48:51], s[4:5], 0x0
	s_lshl_b64 s[54:55], s[8:9], 2
	s_add_u32 s36, s52, s54
	s_addc_u32 s37, s53, s55
	s_lshr_b32 s8, s6, 16
	s_and_b32 s25, s6, 0xffff
	s_and_b32 s7, s7, 0xffff
	s_mul_i32 s46, s8, s25
	v_mul_u32_u24_e32 v4, s25, v1
	v_mul_lo_u32 v3, s46, v2
	s_mul_i32 s46, s46, s7
	v_add3_u32 v40, v4, v0, v3
	s_waitcnt lgkmcnt(0)
	s_cmp_lt_i32 s48, 1
	v_cmp_eq_u32_e64 s6, 0, v40
	s_cbranch_scc1 .LBB13_22
; %bb.8:
	s_mul_i32 s7, s58, s13
	s_mul_hi_u32 s8, s58, s12
	s_mul_i32 s9, s59, s12
	s_add_i32 s7, s8, s7
	s_mul_i32 s8, s58, s12
	s_add_i32 s9, s7, s9
	v_cmp_gt_u32_e64 s7, s49, v40
	s_lshl_b64 s[8:9], s[8:9], 2
	v_mov_b32_e32 v3, 0
	s_add_u32 s13, s56, s8
	s_addc_u32 s16, s57, s9
	s_add_i32 s17, s48, -1
	s_cmp_lg_u32 s49, 0
	s_mov_b32 s9, 0
	s_cselect_b32 s18, -1, 0
	s_ashr_i32 s19, s47, 31
	s_mov_b32 s20, s47
	s_mov_b32 s8, s9
	;; [unrolled: 1-line block ×3, first 2 shown]
	s_branch .LBB13_11
.LBB13_9:                               ;   in Loop: Header=BB13_11 Depth=1
	s_or_b32 exec_lo, exec_lo, s14
.LBB13_10:                              ;   in Loop: Header=BB13_11 Depth=1
	s_add_i32 s8, s8, 1
	s_cmp_eq_u32 s8, s48
	s_cbranch_scc1 .LBB13_23
.LBB13_11:                              ; =>This Loop Header: Depth=1
                                        ;     Child Loop BB13_18 Depth 2
	s_cmp_ge_i32 s8, s17
	s_cbranch_scc1 .LBB13_14
; %bb.12:                               ;   in Loop: Header=BB13_11 Depth=1
	s_lshl_b64 s[10:11], s[8:9], 2
	s_add_u32 s10, s13, s10
	s_addc_u32 s11, s16, s11
	global_load_dword v4, v3, s[10:11]
	s_waitcnt vmcnt(0)
	v_cmp_eq_f32_e32 vcc_lo, 0, v4
	s_cbranch_vccnz .LBB13_14
; %bb.13:                               ;   in Loop: Header=BB13_11 Depth=1
	s_add_i32 s42, s42, 1
.LBB13_14:                              ;   in Loop: Header=BB13_11 Depth=1
	s_lshl_b64 s[14:15], s[8:9], 2
	s_add_u32 s10, s36, s14
	s_addc_u32 s11, s37, s15
	global_load_dword v4, v3, s[10:11]
	s_waitcnt vmcnt(0)
	v_cmp_ngt_f32_e32 vcc_lo, 0, v4
	s_cbranch_vccnz .LBB13_10
; %bb.15:                               ;   in Loop: Header=BB13_11 Depth=1
	s_andn2_b32 vcc_lo, exec_lo, s18
	s_cbranch_vccnz .LBB13_20
; %bb.16:                               ;   in Loop: Header=BB13_11 Depth=1
	s_and_saveexec_b32 s21, s7
	s_cbranch_execz .LBB13_19
; %bb.17:                               ;   in Loop: Header=BB13_11 Depth=1
	v_mov_b32_e32 v4, v40
	s_add_u32 s14, s34, s14
	s_addc_u32 s15, s35, s15
	s_mov_b32 s22, 0
	.p2align	6
.LBB13_18:                              ;   Parent Loop BB13_11 Depth=1
                                        ; =>  This Inner Loop Header: Depth=2
	v_mad_u64_u32 v[5:6], null, v4, s20, 0
	v_mad_u64_u32 v[6:7], null, v4, s19, v[6:7]
	v_add_nc_u32_e32 v4, s46, v4
	v_lshlrev_b64 v[5:6], 2, v[5:6]
	v_add_co_u32 v5, vcc_lo, s14, v5
	v_add_co_ci_u32_e64 v6, null, s15, v6, vcc_lo
	v_cmp_le_u32_e32 vcc_lo, s49, v4
	global_load_dword v7, v[5:6], off
	s_or_b32 s22, vcc_lo, s22
	s_waitcnt vmcnt(0)
	v_xor_b32_e32 v7, 0x80000000, v7
	global_store_dword v[5:6], v7, off
	s_andn2_b32 exec_lo, exec_lo, s22
	s_cbranch_execnz .LBB13_18
.LBB13_19:                              ;   in Loop: Header=BB13_11 Depth=1
	s_or_b32 exec_lo, exec_lo, s21
	s_waitcnt_vscnt null, 0x0
	s_barrier
	buffer_gl0_inv
.LBB13_20:                              ;   in Loop: Header=BB13_11 Depth=1
	s_and_saveexec_b32 s14, s6
	s_cbranch_execz .LBB13_9
; %bb.21:                               ;   in Loop: Header=BB13_11 Depth=1
	global_load_dword v4, v3, s[10:11]
	s_waitcnt vmcnt(0)
	v_xor_b32_e32 v4, 0x80000000, v4
	global_store_dword v3, v4, s[10:11]
	s_branch .LBB13_9
.LBB13_22:
	s_mov_b32 s42, 0
.LBB13_23:
	s_cmp_lt_i32 s42, 1
	s_mov_b32 s6, -1
	s_cbranch_scc0 .LBB13_307
; %bb.24:
	s_mul_i32 s6, s12, s48
	s_mov_b32 s56, 0
	s_lshl_b32 s6, s6, 1
	s_waitcnt_vscnt null, 0x0
	s_ashr_i32 s7, s6, 31
	s_barrier
	s_lshl_b64 s[6:7], s[6:7], 2
	buffer_gl0_inv
	s_add_u32 s6, s40, s6
	s_addc_u32 s7, s41, s7
	s_cmp_lg_u64 s[40:41], 0
	s_cselect_b32 s41, s7, 0
	s_cselect_b32 s40, s6, 0
	s_cmp_lg_u64 s[40:41], 0
	s_cbranch_scc0 .LBB13_43
; %bb.25:
	s_or_b32 s6, s50, s49
	s_or_b32 s6, s6, s51
	s_cmp_gt_i32 s48, 0
	s_cselect_b32 s60, -1, 0
	s_cmp_lg_u64 s[52:53], 0
	s_cselect_b32 s7, -1, 0
	s_and_b32 s58, s60, s7
	s_cmp_eq_u32 s6, 0
	s_cbranch_scc1 .LBB13_44
; %bb.26:
	s_mov_b32 s62, -1
	s_mov_b32 s59, 0
	s_and_b32 vcc_lo, exec_lo, s58
	s_cbranch_vccz .LBB13_142
; %bb.27:
	s_mov_b32 s6, exec_lo
	s_barrier
	buffer_gl0_inv
	v_cmpx_gt_u32_e64 s48, v40
	s_cbranch_execz .LBB13_30
; %bb.28:
	v_mov_b32_e32 v4, 0
	v_mov_b32_e32 v3, v40
	s_mov_b32 s7, 0
.LBB13_29:                              ; =>This Inner Loop Header: Depth=1
	v_lshlrev_b64 v[5:6], 2, v[3:4]
	v_add_co_u32 v5, vcc_lo, s40, v5
	v_add_co_ci_u32_e64 v6, null, s41, v6, vcc_lo
	global_store_dword v[5:6], v3, off
	v_add_nc_u32_e32 v3, s46, v3
	v_cmp_le_u32_e32 vcc_lo, s48, v3
	s_or_b32 s7, vcc_lo, s7
	s_andn2_b32 exec_lo, exec_lo, s7
	s_cbranch_execnz .LBB13_29
.LBB13_30:
	s_or_b32 exec_lo, exec_lo, s6
	v_or3_b32 v3, v1, v2, v0
	s_mov_b32 s18, exec_lo
	s_waitcnt_vscnt null, 0x0
	s_barrier
	buffer_gl0_inv
	v_cmpx_eq_u32_e32 0, v3
	s_cbranch_execz .LBB13_126
; %bb.31:
	s_cmpk_lt_u32 s48, 0x2be
	s_cbranch_scc1 .LBB13_45
; %bb.32:
	v_mov_b32_e32 v3, 0
	v_mov_b32_e32 v4, 0x800
	s_movk_i32 s6, 0x2bd
	s_movk_i32 s14, 0x57a
	s_mov_b64 s[8:9], 0
	s_mov_b32 s7, 0
	s_branch .LBB13_34
.LBB13_33:                              ;   in Loop: Header=BB13_34 Depth=1
	s_ashr_i32 s11, s10, 31
	s_lshl_b64 s[10:11], s[10:11], 2
	s_add_u32 s12, s36, s10
	s_addc_u32 s13, s37, s11
	s_add_u32 s10, s40, s10
	s_addc_u32 s11, s41, s11
	s_add_i32 s6, s6, 1
	s_add_i32 s14, s14, 1
	s_add_u32 s8, s8, 4
	s_addc_u32 s9, s9, 0
	s_cmp_eq_u32 s6, s48
	global_store_dword v3, v5, s[12:13]
	global_store_dword v3, v6, s[10:11]
	s_cbranch_scc1 .LBB13_45
.LBB13_34:                              ; =>This Loop Header: Depth=1
                                        ;     Child Loop BB13_35 Depth 2
	s_lshl_b64 s[10:11], s[6:7], 2
	s_mov_b32 s15, s14
	s_add_u32 s12, s36, s10
	s_addc_u32 s13, s37, s11
	s_add_u32 s10, s40, s10
	s_addc_u32 s11, s41, s11
	s_clause 0x1
	global_load_dword v5, v3, s[12:13]
	global_load_dword v6, v3, s[10:11]
	s_mov_b64 s[10:11], s[8:9]
	.p2align	6
.LBB13_35:                              ;   Parent Loop BB13_34 Depth=1
                                        ; =>  This Inner Loop Header: Depth=2
	s_add_u32 s12, s36, s10
	s_addc_u32 s13, s37, s11
	s_mov_b32 s17, -1
	global_load_dword v7, v3, s[12:13]
	s_mov_b32 s19, -1
                                        ; implicit-def: $sgpr16
	s_waitcnt vmcnt(0)
	v_cmp_nlt_f32_e32 vcc_lo, v7, v5
	s_cbranch_vccnz .LBB13_37
; %bb.36:                               ;   in Loop: Header=BB13_35 Depth=2
	s_add_u32 s20, s40, s10
	s_addc_u32 s21, s41, s11
	s_add_i32 s16, s15, 0xfffffd43
	global_load_dword v8, v3, s[20:21]
	s_add_u32 s10, s10, 0xfffff50c
	s_addc_u32 s11, s11, -1
	s_cmpk_lt_i32 s16, 0x57a
	s_mov_b32 s17, 0
	s_cselect_b32 s19, -1, 0
	global_store_dword v4, v7, s[12:13] offset:756
	s_waitcnt vmcnt(0)
	global_store_dword v4, v8, s[20:21] offset:756
.LBB13_37:                              ;   in Loop: Header=BB13_35 Depth=2
	s_andn2_b32 vcc_lo, exec_lo, s19
	s_cbranch_vccz .LBB13_39
; %bb.38:                               ;   in Loop: Header=BB13_35 Depth=2
	s_mov_b32 s15, s16
	s_branch .LBB13_35
.LBB13_39:                              ;   in Loop: Header=BB13_34 Depth=1
	s_andn2_b32 vcc_lo, exec_lo, s17
	s_mov_b32 s11, -1
                                        ; implicit-def: $sgpr10
	s_cbranch_vccz .LBB13_41
; %bb.40:                               ;   in Loop: Header=BB13_34 Depth=1
	s_add_i32 s10, s16, 0xfffffd43
	s_mov_b32 s11, 0
.LBB13_41:                              ;   in Loop: Header=BB13_34 Depth=1
	s_andn2_b32 vcc_lo, exec_lo, s11
	s_cbranch_vccnz .LBB13_33
; %bb.42:                               ;   in Loop: Header=BB13_34 Depth=1
	s_add_i32 s10, s15, 0xfffffd43
	s_branch .LBB13_33
.LBB13_43:
	s_branch .LBB13_283
.LBB13_44:
	s_mov_b32 s59, 0
	s_cbranch_execnz .LBB13_167
	s_branch .LBB13_278
.LBB13_45:
	s_cmpk_lt_i32 s48, 0x12e
	s_cbranch_scc1 .LBB13_57
; %bb.46:
	v_mov_b32_e32 v3, 0
	s_add_u32 s6, s40, 0x4b4
	s_addc_u32 s7, s41, 0
	s_movk_i32 s8, 0x12d
	s_movk_i32 s16, 0x25a
	s_mov_b32 s9, 0
	s_mov_b64 s[10:11], s[36:37]
	s_branch .LBB13_48
.LBB13_47:                              ;   in Loop: Header=BB13_48 Depth=1
	s_ashr_i32 s13, s12, 31
	s_lshl_b64 s[12:13], s[12:13], 2
	s_add_u32 s14, s36, s12
	s_addc_u32 s15, s37, s13
	s_add_u32 s12, s40, s12
	s_addc_u32 s13, s41, s13
	s_add_i32 s8, s8, 1
	s_add_i32 s16, s16, 1
	s_add_u32 s6, s6, 4
	s_addc_u32 s7, s7, 0
	s_add_u32 s10, s10, 4
	s_addc_u32 s11, s11, 0
	s_cmp_lg_u32 s8, s48
	global_store_dword v3, v4, s[14:15]
	global_store_dword v3, v5, s[12:13]
	s_cbranch_scc0 .LBB13_57
.LBB13_48:                              ; =>This Loop Header: Depth=1
                                        ;     Child Loop BB13_49 Depth 2
	s_lshl_b64 s[12:13], s[8:9], 2
	s_mov_b32 s17, s16
	s_add_u32 s14, s36, s12
	s_addc_u32 s15, s37, s13
	s_add_u32 s12, s40, s12
	s_addc_u32 s13, s41, s13
	s_clause 0x1
	global_load_dword v4, v3, s[14:15]
	global_load_dword v5, v3, s[12:13]
	s_mov_b64 s[12:13], s[10:11]
	s_mov_b64 s[14:15], s[6:7]
	.p2align	6
.LBB13_49:                              ;   Parent Loop BB13_48 Depth=1
                                        ; =>  This Inner Loop Header: Depth=2
	global_load_dword v6, v3, s[12:13]
	s_mov_b32 s20, -1
	s_mov_b32 s21, -1
                                        ; implicit-def: $sgpr19
	s_waitcnt vmcnt(0)
	v_cmp_nlt_f32_e32 vcc_lo, v6, v4
	s_cbranch_vccnz .LBB13_51
; %bb.50:                               ;   in Loop: Header=BB13_49 Depth=2
	global_load_dword v7, v3, s[14:15] offset:-1204
	s_add_u32 s22, s14, 0xfffffb4c
	s_addc_u32 s23, s15, -1
	s_add_i32 s19, s17, 0xfffffed3
	global_store_dword v3, v6, s[12:13] offset:1204
	s_add_u32 s12, s12, 0xfffffb4c
	s_addc_u32 s13, s13, -1
	s_cmpk_lt_i32 s19, 0x25a
	s_mov_b32 s20, 0
	s_cselect_b32 s21, -1, 0
	s_waitcnt vmcnt(0)
	global_store_dword v3, v7, s[14:15]
	s_mov_b64 s[14:15], s[22:23]
.LBB13_51:                              ;   in Loop: Header=BB13_49 Depth=2
	s_andn2_b32 vcc_lo, exec_lo, s21
	s_cbranch_vccz .LBB13_53
; %bb.52:                               ;   in Loop: Header=BB13_49 Depth=2
	s_mov_b32 s17, s19
	s_branch .LBB13_49
.LBB13_53:                              ;   in Loop: Header=BB13_48 Depth=1
	s_andn2_b32 vcc_lo, exec_lo, s20
	s_mov_b32 s13, -1
                                        ; implicit-def: $sgpr12
	s_cbranch_vccz .LBB13_55
; %bb.54:                               ;   in Loop: Header=BB13_48 Depth=1
	s_add_i32 s12, s19, 0xfffffed3
	s_mov_b32 s13, 0
.LBB13_55:                              ;   in Loop: Header=BB13_48 Depth=1
	s_andn2_b32 vcc_lo, exec_lo, s13
	s_cbranch_vccnz .LBB13_47
; %bb.56:                               ;   in Loop: Header=BB13_48 Depth=1
	s_add_i32 s12, s17, 0xfffffed3
	s_branch .LBB13_47
.LBB13_57:
	s_cmpk_lt_i32 s48, 0x85
	s_cbranch_scc1 .LBB13_69
; %bb.58:
	v_mov_b32_e32 v3, 0
	s_add_u32 s6, s40, 0x210
	s_addc_u32 s7, s41, 0
	s_movk_i32 s8, 0x84
	s_movk_i32 s16, 0x108
	s_mov_b32 s9, 0
	s_mov_b64 s[10:11], s[36:37]
	s_branch .LBB13_60
.LBB13_59:                              ;   in Loop: Header=BB13_60 Depth=1
	s_ashr_i32 s13, s12, 31
	s_lshl_b64 s[12:13], s[12:13], 2
	s_add_u32 s14, s36, s12
	s_addc_u32 s15, s37, s13
	s_add_u32 s12, s40, s12
	s_addc_u32 s13, s41, s13
	s_add_i32 s8, s8, 1
	s_add_i32 s16, s16, 1
	s_add_u32 s6, s6, 4
	s_addc_u32 s7, s7, 0
	s_add_u32 s10, s10, 4
	s_addc_u32 s11, s11, 0
	s_cmp_lg_u32 s8, s48
	global_store_dword v3, v4, s[14:15]
	global_store_dword v3, v5, s[12:13]
	s_cbranch_scc0 .LBB13_69
.LBB13_60:                              ; =>This Loop Header: Depth=1
                                        ;     Child Loop BB13_61 Depth 2
	s_lshl_b64 s[12:13], s[8:9], 2
	s_mov_b32 s17, s16
	s_add_u32 s14, s36, s12
	s_addc_u32 s15, s37, s13
	s_add_u32 s12, s40, s12
	s_addc_u32 s13, s41, s13
	s_clause 0x1
	global_load_dword v4, v3, s[14:15]
	global_load_dword v5, v3, s[12:13]
	s_mov_b64 s[12:13], s[10:11]
	s_mov_b64 s[14:15], s[6:7]
	.p2align	6
.LBB13_61:                              ;   Parent Loop BB13_60 Depth=1
                                        ; =>  This Inner Loop Header: Depth=2
	global_load_dword v6, v3, s[12:13]
	s_mov_b32 s20, -1
	s_mov_b32 s21, -1
                                        ; implicit-def: $sgpr19
	s_waitcnt vmcnt(0)
	v_cmp_nlt_f32_e32 vcc_lo, v6, v4
	s_cbranch_vccnz .LBB13_63
; %bb.62:                               ;   in Loop: Header=BB13_61 Depth=2
	global_load_dword v7, v3, s[14:15] offset:-528
	s_add_u32 s22, s14, 0xfffffdf0
	s_addc_u32 s23, s15, -1
	s_add_i32 s19, s17, 0xffffff7c
	global_store_dword v3, v6, s[12:13] offset:528
	s_add_u32 s12, s12, 0xfffffdf0
	s_addc_u32 s13, s13, -1
	s_cmpk_lt_i32 s19, 0x108
	s_mov_b32 s20, 0
	s_cselect_b32 s21, -1, 0
	s_waitcnt vmcnt(0)
	global_store_dword v3, v7, s[14:15]
	s_mov_b64 s[14:15], s[22:23]
.LBB13_63:                              ;   in Loop: Header=BB13_61 Depth=2
	s_andn2_b32 vcc_lo, exec_lo, s21
	s_cbranch_vccz .LBB13_65
; %bb.64:                               ;   in Loop: Header=BB13_61 Depth=2
	s_mov_b32 s17, s19
	s_branch .LBB13_61
.LBB13_65:                              ;   in Loop: Header=BB13_60 Depth=1
	s_andn2_b32 vcc_lo, exec_lo, s20
	s_mov_b32 s13, -1
                                        ; implicit-def: $sgpr12
	s_cbranch_vccz .LBB13_67
; %bb.66:                               ;   in Loop: Header=BB13_60 Depth=1
	s_add_i32 s12, s19, 0xffffff7c
	s_mov_b32 s13, 0
.LBB13_67:                              ;   in Loop: Header=BB13_60 Depth=1
	s_andn2_b32 vcc_lo, exec_lo, s13
	s_cbranch_vccnz .LBB13_59
; %bb.68:                               ;   in Loop: Header=BB13_60 Depth=1
	s_add_i32 s12, s17, 0xffffff7c
	s_branch .LBB13_59
.LBB13_69:
	s_cmp_lt_i32 s48, 58
	s_cbranch_scc1 .LBB13_81
; %bb.70:
	v_mov_b32_e32 v3, 0
	s_add_u32 s6, s40, 0xe4
	s_addc_u32 s7, s41, 0
	s_mov_b32 s8, 57
	s_movk_i32 s16, 0x72
	s_mov_b32 s9, 0
	s_mov_b64 s[10:11], s[36:37]
	s_branch .LBB13_72
.LBB13_71:                              ;   in Loop: Header=BB13_72 Depth=1
	s_ashr_i32 s13, s12, 31
	s_lshl_b64 s[12:13], s[12:13], 2
	s_add_u32 s14, s36, s12
	s_addc_u32 s15, s37, s13
	s_add_u32 s12, s40, s12
	s_addc_u32 s13, s41, s13
	s_add_i32 s8, s8, 1
	s_add_i32 s16, s16, 1
	s_add_u32 s6, s6, 4
	s_addc_u32 s7, s7, 0
	s_add_u32 s10, s10, 4
	s_addc_u32 s11, s11, 0
	s_cmp_lg_u32 s8, s48
	global_store_dword v3, v4, s[14:15]
	global_store_dword v3, v5, s[12:13]
	s_cbranch_scc0 .LBB13_81
.LBB13_72:                              ; =>This Loop Header: Depth=1
                                        ;     Child Loop BB13_73 Depth 2
	s_lshl_b64 s[12:13], s[8:9], 2
	s_mov_b32 s17, s16
	s_add_u32 s14, s36, s12
	s_addc_u32 s15, s37, s13
	s_add_u32 s12, s40, s12
	s_addc_u32 s13, s41, s13
	s_clause 0x1
	global_load_dword v4, v3, s[14:15]
	global_load_dword v5, v3, s[12:13]
	s_mov_b64 s[12:13], s[10:11]
	s_mov_b64 s[14:15], s[6:7]
	.p2align	6
.LBB13_73:                              ;   Parent Loop BB13_72 Depth=1
                                        ; =>  This Inner Loop Header: Depth=2
	global_load_dword v6, v3, s[12:13]
	s_mov_b32 s20, -1
	s_mov_b32 s21, -1
                                        ; implicit-def: $sgpr19
	s_waitcnt vmcnt(0)
	v_cmp_nlt_f32_e32 vcc_lo, v6, v4
	s_cbranch_vccnz .LBB13_75
; %bb.74:                               ;   in Loop: Header=BB13_73 Depth=2
	global_load_dword v7, v3, s[14:15] offset:-228
	s_add_u32 s22, s14, 0xffffff1c
	s_addc_u32 s23, s15, -1
	s_sub_i32 s19, s17, 57
	global_store_dword v3, v6, s[12:13] offset:228
	s_add_u32 s12, s12, 0xffffff1c
	s_addc_u32 s13, s13, -1
	s_cmpk_lt_i32 s19, 0x72
	s_mov_b32 s20, 0
	s_cselect_b32 s21, -1, 0
	s_waitcnt vmcnt(0)
	global_store_dword v3, v7, s[14:15]
	s_mov_b64 s[14:15], s[22:23]
.LBB13_75:                              ;   in Loop: Header=BB13_73 Depth=2
	s_andn2_b32 vcc_lo, exec_lo, s21
	s_cbranch_vccz .LBB13_77
; %bb.76:                               ;   in Loop: Header=BB13_73 Depth=2
	s_mov_b32 s17, s19
	s_branch .LBB13_73
.LBB13_77:                              ;   in Loop: Header=BB13_72 Depth=1
	s_andn2_b32 vcc_lo, exec_lo, s20
	s_mov_b32 s13, -1
                                        ; implicit-def: $sgpr12
	s_cbranch_vccz .LBB13_79
; %bb.78:                               ;   in Loop: Header=BB13_72 Depth=1
	s_sub_i32 s12, s19, 57
	s_mov_b32 s13, 0
.LBB13_79:                              ;   in Loop: Header=BB13_72 Depth=1
	s_andn2_b32 vcc_lo, exec_lo, s13
	s_cbranch_vccnz .LBB13_71
; %bb.80:                               ;   in Loop: Header=BB13_72 Depth=1
	s_sub_i32 s12, s17, 57
	s_branch .LBB13_71
.LBB13_81:
	s_cmp_lt_i32 s48, 24
	s_cbranch_scc1 .LBB13_93
; %bb.82:
	v_mov_b32_e32 v3, 0
	s_add_u32 s6, s40, 0x5c
	s_addc_u32 s7, s41, 0
	s_mov_b32 s8, 23
	s_mov_b32 s16, 46
	s_mov_b32 s9, 0
	s_mov_b64 s[10:11], s[36:37]
	s_branch .LBB13_84
.LBB13_83:                              ;   in Loop: Header=BB13_84 Depth=1
	s_ashr_i32 s13, s12, 31
	s_lshl_b64 s[12:13], s[12:13], 2
	s_add_u32 s14, s36, s12
	s_addc_u32 s15, s37, s13
	s_add_u32 s12, s40, s12
	s_addc_u32 s13, s41, s13
	s_add_i32 s8, s8, 1
	s_add_i32 s16, s16, 1
	s_add_u32 s6, s6, 4
	s_addc_u32 s7, s7, 0
	s_add_u32 s10, s10, 4
	s_addc_u32 s11, s11, 0
	s_cmp_lg_u32 s8, s48
	global_store_dword v3, v4, s[14:15]
	global_store_dword v3, v5, s[12:13]
	s_cbranch_scc0 .LBB13_93
.LBB13_84:                              ; =>This Loop Header: Depth=1
                                        ;     Child Loop BB13_85 Depth 2
	s_lshl_b64 s[12:13], s[8:9], 2
	s_mov_b32 s17, s16
	s_add_u32 s14, s36, s12
	s_addc_u32 s15, s37, s13
	s_add_u32 s12, s40, s12
	s_addc_u32 s13, s41, s13
	s_clause 0x1
	global_load_dword v4, v3, s[14:15]
	global_load_dword v5, v3, s[12:13]
	s_mov_b64 s[12:13], s[10:11]
	s_mov_b64 s[14:15], s[6:7]
	.p2align	6
.LBB13_85:                              ;   Parent Loop BB13_84 Depth=1
                                        ; =>  This Inner Loop Header: Depth=2
	global_load_dword v6, v3, s[12:13]
	s_mov_b32 s20, -1
	s_mov_b32 s21, -1
                                        ; implicit-def: $sgpr19
	s_waitcnt vmcnt(0)
	v_cmp_nlt_f32_e32 vcc_lo, v6, v4
	s_cbranch_vccnz .LBB13_87
; %bb.86:                               ;   in Loop: Header=BB13_85 Depth=2
	global_load_dword v7, v3, s[14:15] offset:-92
	s_add_u32 s22, s14, 0xffffffa4
	s_addc_u32 s23, s15, -1
	s_sub_i32 s19, s17, 23
	global_store_dword v3, v6, s[12:13] offset:92
	s_add_u32 s12, s12, 0xffffffa4
	s_addc_u32 s13, s13, -1
	s_cmp_lt_i32 s19, 46
	s_mov_b32 s20, 0
	s_cselect_b32 s21, -1, 0
	s_waitcnt vmcnt(0)
	global_store_dword v3, v7, s[14:15]
	s_mov_b64 s[14:15], s[22:23]
.LBB13_87:                              ;   in Loop: Header=BB13_85 Depth=2
	s_andn2_b32 vcc_lo, exec_lo, s21
	s_cbranch_vccz .LBB13_89
; %bb.88:                               ;   in Loop: Header=BB13_85 Depth=2
	s_mov_b32 s17, s19
	s_branch .LBB13_85
.LBB13_89:                              ;   in Loop: Header=BB13_84 Depth=1
	s_andn2_b32 vcc_lo, exec_lo, s20
	s_mov_b32 s13, -1
                                        ; implicit-def: $sgpr12
	s_cbranch_vccz .LBB13_91
; %bb.90:                               ;   in Loop: Header=BB13_84 Depth=1
	s_sub_i32 s12, s19, 23
	s_mov_b32 s13, 0
.LBB13_91:                              ;   in Loop: Header=BB13_84 Depth=1
	s_andn2_b32 vcc_lo, exec_lo, s13
	s_cbranch_vccnz .LBB13_83
; %bb.92:                               ;   in Loop: Header=BB13_84 Depth=1
	s_sub_i32 s12, s17, 23
	s_branch .LBB13_83
.LBB13_93:
	s_cmp_lt_i32 s48, 11
	s_cbranch_scc1 .LBB13_105
; %bb.94:
	v_mov_b32_e32 v3, 0
	s_add_u32 s6, s40, 40
	s_addc_u32 s7, s41, 0
	s_mov_b32 s8, 10
	s_mov_b32 s16, 20
	;; [unrolled: 1-line block ×3, first 2 shown]
	s_mov_b64 s[10:11], s[36:37]
	s_branch .LBB13_96
.LBB13_95:                              ;   in Loop: Header=BB13_96 Depth=1
	s_ashr_i32 s13, s12, 31
	s_lshl_b64 s[12:13], s[12:13], 2
	s_add_u32 s14, s36, s12
	s_addc_u32 s15, s37, s13
	s_add_u32 s12, s40, s12
	s_addc_u32 s13, s41, s13
	s_add_i32 s8, s8, 1
	s_add_i32 s16, s16, 1
	s_add_u32 s6, s6, 4
	s_addc_u32 s7, s7, 0
	s_add_u32 s10, s10, 4
	s_addc_u32 s11, s11, 0
	s_cmp_lg_u32 s8, s48
	global_store_dword v3, v4, s[14:15]
	global_store_dword v3, v5, s[12:13]
	s_cbranch_scc0 .LBB13_105
.LBB13_96:                              ; =>This Loop Header: Depth=1
                                        ;     Child Loop BB13_97 Depth 2
	s_lshl_b64 s[12:13], s[8:9], 2
	s_mov_b32 s17, s16
	s_add_u32 s14, s36, s12
	s_addc_u32 s15, s37, s13
	s_add_u32 s12, s40, s12
	s_addc_u32 s13, s41, s13
	s_clause 0x1
	global_load_dword v4, v3, s[14:15]
	global_load_dword v5, v3, s[12:13]
	s_mov_b64 s[12:13], s[10:11]
	s_mov_b64 s[14:15], s[6:7]
	.p2align	6
.LBB13_97:                              ;   Parent Loop BB13_96 Depth=1
                                        ; =>  This Inner Loop Header: Depth=2
	global_load_dword v6, v3, s[12:13]
	s_mov_b32 s20, -1
	s_mov_b32 s21, -1
                                        ; implicit-def: $sgpr19
	s_waitcnt vmcnt(0)
	v_cmp_nlt_f32_e32 vcc_lo, v6, v4
	s_cbranch_vccnz .LBB13_99
; %bb.98:                               ;   in Loop: Header=BB13_97 Depth=2
	global_load_dword v7, v3, s[14:15] offset:-40
	s_add_u32 s22, s14, 0xffffffd8
	s_addc_u32 s23, s15, -1
	s_add_i32 s19, s17, -10
	global_store_dword v3, v6, s[12:13] offset:40
	s_add_u32 s12, s12, 0xffffffd8
	s_addc_u32 s13, s13, -1
	s_cmp_lt_i32 s19, 20
	s_mov_b32 s20, 0
	s_cselect_b32 s21, -1, 0
	s_waitcnt vmcnt(0)
	global_store_dword v3, v7, s[14:15]
	s_mov_b64 s[14:15], s[22:23]
.LBB13_99:                              ;   in Loop: Header=BB13_97 Depth=2
	s_andn2_b32 vcc_lo, exec_lo, s21
	s_cbranch_vccz .LBB13_101
; %bb.100:                              ;   in Loop: Header=BB13_97 Depth=2
	s_mov_b32 s17, s19
	s_branch .LBB13_97
.LBB13_101:                             ;   in Loop: Header=BB13_96 Depth=1
	s_andn2_b32 vcc_lo, exec_lo, s20
	s_mov_b32 s13, -1
                                        ; implicit-def: $sgpr12
	s_cbranch_vccz .LBB13_103
; %bb.102:                              ;   in Loop: Header=BB13_96 Depth=1
	s_add_i32 s12, s19, -10
	s_mov_b32 s13, 0
.LBB13_103:                             ;   in Loop: Header=BB13_96 Depth=1
	s_andn2_b32 vcc_lo, exec_lo, s13
	s_cbranch_vccnz .LBB13_95
; %bb.104:                              ;   in Loop: Header=BB13_96 Depth=1
	s_add_i32 s12, s17, -10
	s_branch .LBB13_95
.LBB13_105:
	s_cmp_lt_i32 s48, 5
	s_cbranch_scc1 .LBB13_117
; %bb.106:
	s_add_u32 s6, s40, 16
	s_addc_u32 s7, s41, 0
	s_add_u32 s8, s52, s54
	v_mov_b32_e32 v3, 0
	s_addc_u32 s9, s53, s55
	s_add_u32 s8, s8, 16
	s_addc_u32 s9, s9, 0
	s_mov_b32 s10, 4
	s_mov_b32 s19, 8
	;; [unrolled: 1-line block ×3, first 2 shown]
	s_branch .LBB13_108
.LBB13_107:                             ;   in Loop: Header=BB13_108 Depth=1
	s_ashr_i32 s13, s12, 31
	s_lshl_b64 s[12:13], s[12:13], 2
	s_add_u32 s14, s36, s12
	s_addc_u32 s15, s37, s13
	s_add_u32 s12, s40, s12
	s_addc_u32 s13, s41, s13
	s_add_i32 s10, s10, 1
	s_add_i32 s19, s19, 1
	s_add_u32 s6, s6, 4
	s_addc_u32 s7, s7, 0
	s_add_u32 s8, s8, 4
	s_addc_u32 s9, s9, 0
	s_cmp_lg_u32 s10, s48
	global_store_dword v3, v4, s[14:15]
	global_store_dword v3, v5, s[12:13]
	s_cbranch_scc0 .LBB13_117
.LBB13_108:                             ; =>This Loop Header: Depth=1
                                        ;     Child Loop BB13_109 Depth 2
	s_lshl_b64 s[12:13], s[10:11], 2
	s_mov_b64 s[16:17], s[8:9]
	s_add_u32 s14, s36, s12
	s_addc_u32 s15, s37, s13
	s_add_u32 s12, s40, s12
	s_addc_u32 s13, s41, s13
	s_clause 0x1
	global_load_dword v4, v3, s[14:15]
	global_load_dword v5, v3, s[12:13]
	s_mov_b64 s[12:13], s[6:7]
	s_mov_b32 s20, s19
	.p2align	6
.LBB13_109:                             ;   Parent Loop BB13_108 Depth=1
                                        ; =>  This Inner Loop Header: Depth=2
	global_load_dword v6, v3, s[16:17] offset:-16
	s_add_u32 s14, s16, -16
	s_addc_u32 s15, s17, -1
	s_mov_b32 s22, -1
	s_mov_b32 s23, -1
                                        ; implicit-def: $sgpr21
	s_waitcnt vmcnt(0)
	v_cmp_nlt_f32_e32 vcc_lo, v6, v4
	s_cbranch_vccnz .LBB13_111
; %bb.110:                              ;   in Loop: Header=BB13_109 Depth=2
	global_load_dword v7, v3, s[12:13] offset:-16
	s_add_u32 s30, s12, -16
	s_addc_u32 s31, s13, -1
	s_add_i32 s21, s20, -4
	s_mov_b32 s22, 0
	s_cmp_lt_i32 s21, 8
	global_store_dword v3, v6, s[16:17]
	s_cselect_b32 s23, -1, 0
	s_waitcnt vmcnt(0)
	global_store_dword v3, v7, s[12:13]
	s_mov_b64 s[12:13], s[30:31]
.LBB13_111:                             ;   in Loop: Header=BB13_109 Depth=2
	s_andn2_b32 vcc_lo, exec_lo, s23
	s_cbranch_vccz .LBB13_113
; %bb.112:                              ;   in Loop: Header=BB13_109 Depth=2
	s_mov_b64 s[16:17], s[14:15]
	s_mov_b32 s20, s21
	s_branch .LBB13_109
.LBB13_113:                             ;   in Loop: Header=BB13_108 Depth=1
	s_andn2_b32 vcc_lo, exec_lo, s22
	s_mov_b32 s13, -1
                                        ; implicit-def: $sgpr12
	s_cbranch_vccz .LBB13_115
; %bb.114:                              ;   in Loop: Header=BB13_108 Depth=1
	s_add_i32 s12, s21, -4
	s_mov_b32 s13, 0
.LBB13_115:                             ;   in Loop: Header=BB13_108 Depth=1
	s_andn2_b32 vcc_lo, exec_lo, s13
	s_cbranch_vccnz .LBB13_107
; %bb.116:                              ;   in Loop: Header=BB13_108 Depth=1
	s_add_i32 s12, s20, -4
	s_branch .LBB13_107
.LBB13_117:
	s_cmp_lt_i32 s48, 2
	s_mov_b32 s19, 2
	s_cbranch_scc1 .LBB13_126
; %bb.118:
	s_add_u32 s6, s40, 4
	s_addc_u32 s7, s41, 0
	s_add_u32 s8, s52, s54
	v_mov_b32_e32 v3, 0
	s_addc_u32 s9, s53, s55
	s_add_u32 s8, s8, 4
	s_addc_u32 s9, s9, 0
	s_mov_b32 s10, 1
	s_mov_b32 s11, 0
	s_branch .LBB13_120
.LBB13_119:                             ;   in Loop: Header=BB13_120 Depth=1
	s_ashr_i32 s13, s12, 31
	s_lshl_b64 s[12:13], s[12:13], 2
	s_add_u32 s14, s36, s12
	s_addc_u32 s15, s37, s13
	s_add_u32 s12, s40, s12
	s_addc_u32 s13, s41, s13
	s_add_i32 s10, s10, 1
	s_add_i32 s19, s19, 1
	s_add_u32 s6, s6, 4
	s_addc_u32 s7, s7, 0
	s_add_u32 s8, s8, 4
	s_addc_u32 s9, s9, 0
	s_cmp_eq_u32 s10, s48
	global_store_dword v3, v4, s[14:15]
	global_store_dword v3, v5, s[12:13]
	s_cbranch_scc1 .LBB13_126
.LBB13_120:                             ; =>This Loop Header: Depth=1
                                        ;     Child Loop BB13_122 Depth 2
	s_lshl_b64 s[12:13], s[10:11], 2
	s_mov_b32 s21, s19
	s_add_u32 s14, s36, s12
	s_addc_u32 s15, s37, s13
	s_add_u32 s12, s40, s12
	s_addc_u32 s13, s41, s13
	s_clause 0x1
	global_load_dword v4, v3, s[14:15]
	global_load_dword v5, v3, s[12:13]
	s_mov_b64 s[14:15], s[8:9]
	s_mov_b64 s[12:13], s[6:7]
	s_inst_prefetch 0x1
	s_branch .LBB13_122
	.p2align	6
.LBB13_121:                             ;   in Loop: Header=BB13_122 Depth=2
	s_andn2_b32 vcc_lo, exec_lo, s23
	s_mov_b64 s[14:15], s[16:17]
	s_cbranch_vccz .LBB13_124
.LBB13_122:                             ;   Parent Loop BB13_120 Depth=1
                                        ; =>  This Inner Loop Header: Depth=2
	global_load_dword v6, v3, s[14:15] offset:-4
	s_add_u32 s16, s14, -4
	s_mov_b32 s20, s21
	s_addc_u32 s17, s15, -1
	s_mov_b32 s22, -1
	s_mov_b32 s23, -1
                                        ; implicit-def: $sgpr21
	s_waitcnt vmcnt(0)
	v_cmp_nlt_f32_e32 vcc_lo, v6, v4
	s_cbranch_vccnz .LBB13_121
; %bb.123:                              ;   in Loop: Header=BB13_122 Depth=2
	global_load_dword v7, v3, s[12:13] offset:-4
	s_add_u32 s30, s12, -4
	s_addc_u32 s31, s13, -1
	s_add_i32 s21, s20, -1
	s_mov_b32 s22, 0
	s_cmp_lt_i32 s21, 2
	global_store_dword v3, v6, s[14:15]
	s_cselect_b32 s23, -1, 0
	s_waitcnt vmcnt(0)
	global_store_dword v3, v7, s[12:13]
	s_mov_b64 s[12:13], s[30:31]
	s_branch .LBB13_121
.LBB13_124:                             ;   in Loop: Header=BB13_120 Depth=1
	s_inst_prefetch 0x2
	s_and_b32 vcc_lo, exec_lo, s22
	s_mov_b32 s12, 0
	s_cbranch_vccz .LBB13_119
; %bb.125:                              ;   in Loop: Header=BB13_120 Depth=1
	s_add_i32 s12, s20, -1
	s_branch .LBB13_119
.LBB13_126:
	s_or_b32 exec_lo, exec_lo, s18
	s_cmp_lt_i32 s48, 2
	s_mov_b32 s62, 0
	s_cselect_b32 s9, -1, 0
	s_waitcnt_vscnt null, 0x0
	s_and_b32 vcc_lo, exec_lo, s9
	s_barrier
	buffer_gl0_inv
	s_cbranch_vccnz .LBB13_134
; %bb.127:
	s_add_i32 s8, s48, -1
	s_mov_b32 s9, -1
	s_mov_b32 s6, 0
	s_mov_b32 s7, exec_lo
	v_cmpx_gt_u32_e64 s8, v40
	s_cbranch_execz .LBB13_136
; %bb.128:
	v_mov_b32_e32 v4, 0
	v_mov_b32_e32 v3, v40
	s_mov_b32 s9, 0
                                        ; implicit-def: $sgpr10
	s_inst_prefetch 0x1
	s_branch .LBB13_130
	.p2align	6
.LBB13_129:                             ;   in Loop: Header=BB13_130 Depth=1
	s_or_b32 exec_lo, exec_lo, s13
	s_xor_b32 s11, s12, -1
	s_and_b32 s6, exec_lo, s6
	s_or_b32 s9, s6, s9
	s_andn2_b32 s6, s10, exec_lo
	s_and_b32 s10, s11, exec_lo
	s_or_b32 s10, s6, s10
	s_andn2_b32 exec_lo, exec_lo, s9
	s_cbranch_execz .LBB13_135
.LBB13_130:                             ; =>This Inner Loop Header: Depth=1
	v_lshlrev_b64 v[5:6], 2, v[3:4]
	s_mov_b32 s12, exec_lo
	v_add_co_u32 v5, vcc_lo, s36, v5
	v_add_co_ci_u32_e64 v6, null, s37, v6, vcc_lo
	global_load_dword v7, v[5:6], off
	s_waitcnt vmcnt(0)
	v_cmp_u_f32_e64 s11, v7, v7
	v_cmpx_o_f32_e32 v7, v7
	s_cbranch_execz .LBB13_132
; %bb.131:                              ;   in Loop: Header=BB13_130 Depth=1
	global_load_dword v5, v[5:6], off offset:4
	s_andn2_b32 s11, s11, exec_lo
	s_waitcnt vmcnt(0)
	v_cmp_u_f32_e32 vcc_lo, v5, v5
	v_cmp_ge_f32_e64 s6, v7, v5
	s_or_b32 s6, vcc_lo, s6
	s_and_b32 s6, s6, exec_lo
	s_or_b32 s11, s11, s6
.LBB13_132:                             ;   in Loop: Header=BB13_130 Depth=1
	s_or_b32 exec_lo, exec_lo, s12
	s_mov_b32 s6, -1
	s_mov_b32 s12, -1
	s_and_saveexec_b32 s13, s11
	s_cbranch_execz .LBB13_129
; %bb.133:                              ;   in Loop: Header=BB13_130 Depth=1
	v_add_nc_u32_e32 v3, s46, v3
	s_xor_b32 s12, exec_lo, -1
	v_cmp_le_u32_e32 vcc_lo, s8, v3
	s_orn2_b32 s6, vcc_lo, exec_lo
	s_branch .LBB13_129
.LBB13_134:
	s_mov_b32 s6, 0
	s_branch .LBB13_137
.LBB13_135:
	s_inst_prefetch 0x2
	s_or_b32 exec_lo, exec_lo, s9
	s_mov_b32 s6, exec_lo
	s_orn2_b32 s9, s10, exec_lo
.LBB13_136:
	s_or_b32 exec_lo, exec_lo, s7
.LBB13_137:
	s_and_saveexec_b32 s7, s9
	s_cbranch_execz .LBB13_139
; %bb.138:
	s_mov_b32 s62, exec_lo
	s_barrier
	s_andn2_b32 s6, s6, exec_lo
	buffer_gl0_inv
.LBB13_139:
	s_or_b32 exec_lo, exec_lo, s7
	s_mov_b32 s56, 0
	s_and_saveexec_b32 s63, s6
	s_cbranch_execz .LBB13_141
; %bb.140:
	s_add_u32 s8, s4, 0x90
	s_addc_u32 s9, s5, 0
	s_getpc_b64 s[6:7]
	s_add_u32 s6, s6, __PRETTY_FUNCTION__._ZN9rocsolver6v33100L21shell_sort_descendingIfiEEvT0_PT_PS2_@rel32@lo+4
	s_addc_u32 s7, s7, __PRETTY_FUNCTION__._ZN9rocsolver6v33100L21shell_sort_descendingIfiEEvT0_PT_PS2_@rel32@hi+12
	v_mov_b32_e32 v41, v0
	v_mov_b32_e32 v0, s6
	v_mov_b32_e32 v42, v1
	v_mov_b32_e32 v1, s7
	s_getpc_b64 s[10:11]
	s_add_u32 s10, s10, __assert_fail@rel32@lo+4
	s_addc_u32 s11, s11, __assert_fail@rel32@hi+12
	s_mov_b64 s[56:57], s[4:5]
	v_mov_b32_e32 v43, v2
	s_swappc_b64 s[30:31], s[10:11]
	v_mov_b32_e32 v0, v41
	v_mov_b32_e32 v1, v42
	;; [unrolled: 1-line block ×3, first 2 shown]
	s_mov_b64 s[4:5], s[56:57]
	s_mov_b32 s56, exec_lo
.LBB13_141:
	s_or_b32 exec_lo, exec_lo, s63
.LBB13_142:
	s_and_saveexec_b32 s22, s62
	s_cbranch_execz .LBB13_166
; %bb.143:
	s_andn2_b32 vcc_lo, exec_lo, s60
	s_waitcnt_vscnt null, 0x0
	s_barrier
	buffer_gl0_inv
	s_cbranch_vccnz .LBB13_165
; %bb.144:
	s_cmp_gt_i32 s49, 0
	v_cmp_eq_u32_e64 s6, 0, v40
	s_cselect_b32 s23, -1, 0
	s_ashr_i32 s24, s47, 31
	s_cmp_gt_i32 s50, 0
	v_cmp_gt_u32_e64 s7, s49, v40
	v_cmp_gt_u32_e64 s8, s50, v40
	;; [unrolled: 1-line block ×3, first 2 shown]
	v_mov_b32_e32 v4, 0
	s_mov_b32 s11, 0
	s_cselect_b32 s31, -1, 0
	s_cmp_gt_i32 s51, 0
	s_mov_b32 s30, s47
	s_mov_b32 s33, s43
	s_cselect_b32 s57, -1, 0
	s_ashr_i32 s59, s61, 31
	s_mov_b32 s60, s61
	s_mov_b32 s10, s11
	s_branch .LBB13_146
.LBB13_145:                             ;   in Loop: Header=BB13_146 Depth=1
	s_add_i32 s10, s10, 1
	s_cmp_eq_u32 s10, s48
	s_cbranch_scc1 .LBB13_165
.LBB13_146:                             ; =>This Loop Header: Depth=1
                                        ;     Child Loop BB13_149 Depth 2
                                        ;       Child Loop BB13_154 Depth 3
                                        ;       Child Loop BB13_159 Depth 3
	;; [unrolled: 1-line block ×3, first 2 shown]
	s_lshl_b64 s[12:13], s[10:11], 2
	s_add_u32 s12, s40, s12
	s_addc_u32 s13, s41, s13
	global_load_dword v3, v4, s[12:13]
	s_waitcnt vmcnt(0)
	v_cmp_eq_u32_e32 vcc_lo, s10, v3
	v_readfirstlane_b32 s18, v3
	s_cbranch_vccz .LBB13_149
	s_branch .LBB13_145
.LBB13_147:                             ;   in Loop: Header=BB13_149 Depth=2
	s_or_b32 exec_lo, exec_lo, s18
	s_waitcnt_vscnt null, 0x0
	s_barrier
	buffer_gl0_inv
.LBB13_148:                             ;   in Loop: Header=BB13_149 Depth=2
	global_load_dword v3, v4, s[12:13]
	s_waitcnt vmcnt(0)
	v_cmp_ne_u32_e32 vcc_lo, s10, v3
	v_readfirstlane_b32 s18, v3
	s_cbranch_vccz .LBB13_145
.LBB13_149:                             ;   Parent Loop BB13_146 Depth=1
                                        ; =>  This Loop Header: Depth=2
                                        ;       Child Loop BB13_154 Depth 3
                                        ;       Child Loop BB13_159 Depth 3
	;; [unrolled: 1-line block ×3, first 2 shown]
	s_ashr_i32 s19, s18, 31
	s_lshl_b64 s[14:15], s[18:19], 2
	s_add_u32 s20, s40, s14
	s_addc_u32 s21, s41, s15
	global_load_dword v3, v4, s[20:21]
	s_waitcnt vmcnt(0)
	s_barrier
	buffer_gl0_inv
	v_readfirstlane_b32 s16, v3
	s_and_saveexec_b32 s17, s6
	s_cbranch_execz .LBB13_151
; %bb.150:                              ;   in Loop: Header=BB13_149 Depth=2
	v_mov_b32_e32 v3, s18
	v_mov_b32_e32 v5, s16
	global_store_dword v4, v3, s[20:21]
	global_store_dword v4, v5, s[12:13]
.LBB13_151:                             ;   in Loop: Header=BB13_149 Depth=2
	s_or_b32 exec_lo, exec_lo, s17
	s_andn2_b32 vcc_lo, exec_lo, s23
	s_waitcnt_vscnt null, 0x0
	s_barrier
	buffer_gl0_inv
	s_cbranch_vccnz .LBB13_156
; %bb.152:                              ;   in Loop: Header=BB13_149 Depth=2
	s_and_saveexec_b32 s19, s7
	s_cbranch_execz .LBB13_155
; %bb.153:                              ;   in Loop: Header=BB13_149 Depth=2
	v_mov_b32_e32 v3, v40
	s_ashr_i32 s17, s16, 31
	s_mov_b32 s62, 0
	s_lshl_b64 s[20:21], s[16:17], 2
	.p2align	6
.LBB13_154:                             ;   Parent Loop BB13_146 Depth=1
                                        ;     Parent Loop BB13_149 Depth=2
                                        ; =>    This Inner Loop Header: Depth=3
	v_mad_u64_u32 v[5:6], null, v3, s30, 0
	v_mad_u64_u32 v[6:7], null, v3, s24, v[6:7]
	v_add_nc_u32_e32 v3, s46, v3
	v_lshlrev_b64 v[5:6], 2, v[5:6]
	v_add_co_u32 v7, vcc_lo, s34, v5
	v_add_co_ci_u32_e64 v8, null, s35, v6, vcc_lo
	v_add_co_u32 v5, vcc_lo, v7, s20
	v_add_co_ci_u32_e64 v6, null, s21, v8, vcc_lo
	;; [unrolled: 2-line block ×3, first 2 shown]
	s_clause 0x1
	global_load_dword v9, v[5:6], off
	global_load_dword v10, v[7:8], off
	v_cmp_le_u32_e32 vcc_lo, s49, v3
	s_waitcnt vmcnt(1)
	global_store_dword v[7:8], v9, off
	s_waitcnt vmcnt(0)
	global_store_dword v[5:6], v10, off
	s_or_b32 s62, vcc_lo, s62
	s_andn2_b32 exec_lo, exec_lo, s62
	s_cbranch_execnz .LBB13_154
.LBB13_155:                             ;   in Loop: Header=BB13_149 Depth=2
	s_or_b32 exec_lo, exec_lo, s19
	s_waitcnt_vscnt null, 0x0
	s_barrier
	buffer_gl0_inv
.LBB13_156:                             ;   in Loop: Header=BB13_149 Depth=2
	s_andn2_b32 vcc_lo, exec_lo, s31
	s_cbranch_vccnz .LBB13_161
; %bb.157:                              ;   in Loop: Header=BB13_149 Depth=2
	s_and_saveexec_b32 s17, s8
	s_cbranch_execz .LBB13_160
; %bb.158:                              ;   in Loop: Header=BB13_149 Depth=2
	s_mul_hi_i32 s19, s18, s33
	s_mul_i32 s18, s18, s33
	s_mul_hi_i32 s21, s16, s33
	s_lshl_b64 s[18:19], s[18:19], 2
	s_mul_i32 s20, s16, s33
	s_add_u32 s18, s28, s18
	s_addc_u32 s19, s29, s19
	s_lshl_b64 s[20:21], s[20:21], 2
	v_mov_b32_e32 v3, v40
	s_add_u32 s20, s28, s20
	s_addc_u32 s21, s29, s21
	s_mov_b32 s62, 0
	.p2align	6
.LBB13_159:                             ;   Parent Loop BB13_146 Depth=1
                                        ;     Parent Loop BB13_149 Depth=2
                                        ; =>    This Inner Loop Header: Depth=3
	v_lshlrev_b64 v[5:6], 2, v[3:4]
	v_add_nc_u32_e32 v3, s46, v3
	v_add_co_u32 v7, vcc_lo, s20, v5
	v_add_co_ci_u32_e64 v8, null, s21, v6, vcc_lo
	v_add_co_u32 v5, vcc_lo, s18, v5
	v_add_co_ci_u32_e64 v6, null, s19, v6, vcc_lo
	s_clause 0x1
	global_load_dword v9, v[7:8], off
	global_load_dword v10, v[5:6], off
	v_cmp_le_u32_e32 vcc_lo, s50, v3
	s_waitcnt vmcnt(1)
	global_store_dword v[5:6], v9, off
	s_waitcnt vmcnt(0)
	global_store_dword v[7:8], v10, off
	s_or_b32 s62, vcc_lo, s62
	s_andn2_b32 exec_lo, exec_lo, s62
	s_cbranch_execnz .LBB13_159
.LBB13_160:                             ;   in Loop: Header=BB13_149 Depth=2
	s_or_b32 exec_lo, exec_lo, s17
	s_waitcnt_vscnt null, 0x0
	s_barrier
	buffer_gl0_inv
.LBB13_161:                             ;   in Loop: Header=BB13_149 Depth=2
	s_andn2_b32 vcc_lo, exec_lo, s57
	s_cbranch_vccnz .LBB13_148
; %bb.162:                              ;   in Loop: Header=BB13_149 Depth=2
	s_and_saveexec_b32 s18, s9
	s_cbranch_execz .LBB13_147
; %bb.163:                              ;   in Loop: Header=BB13_149 Depth=2
	v_mov_b32_e32 v3, v40
	s_ashr_i32 s17, s16, 31
	s_mov_b32 s19, 0
	s_lshl_b64 s[16:17], s[16:17], 2
	.p2align	6
.LBB13_164:                             ;   Parent Loop BB13_146 Depth=1
                                        ;     Parent Loop BB13_149 Depth=2
                                        ; =>    This Inner Loop Header: Depth=3
	v_mad_u64_u32 v[5:6], null, v3, s60, 0
	v_mad_u64_u32 v[6:7], null, v3, s59, v[6:7]
	v_add_nc_u32_e32 v3, s46, v3
	v_lshlrev_b64 v[5:6], 2, v[5:6]
	v_add_co_u32 v7, vcc_lo, s44, v5
	v_add_co_ci_u32_e64 v8, null, s45, v6, vcc_lo
	v_add_co_u32 v5, vcc_lo, v7, s16
	v_add_co_ci_u32_e64 v6, null, s17, v8, vcc_lo
	;; [unrolled: 2-line block ×3, first 2 shown]
	s_clause 0x1
	global_load_dword v9, v[5:6], off
	global_load_dword v10, v[7:8], off
	v_cmp_le_u32_e32 vcc_lo, s51, v3
	s_waitcnt vmcnt(1)
	global_store_dword v[7:8], v9, off
	s_waitcnt vmcnt(0)
	global_store_dword v[5:6], v10, off
	s_or_b32 s19, vcc_lo, s19
	s_andn2_b32 exec_lo, exec_lo, s19
	s_cbranch_execnz .LBB13_164
	s_branch .LBB13_147
.LBB13_165:
	s_mov_b32 s59, exec_lo
.LBB13_166:
	s_or_b32 exec_lo, exec_lo, s22
	s_branch .LBB13_278
.LBB13_167:
	s_and_b32 vcc_lo, exec_lo, s58
	s_mov_b32 s59, -1
	s_cbranch_vccz .LBB13_278
; %bb.168:
	v_or3_b32 v0, v1, v2, v0
	s_mov_b32 s14, exec_lo
	s_waitcnt_vscnt null, 0x0
	s_barrier
	buffer_gl0_inv
	s_barrier
	buffer_gl0_inv
	v_cmpx_eq_u32_e32 0, v0
	s_cbranch_execz .LBB13_262
; %bb.169:
	s_cmpk_lt_u32 s48, 0x2be
	s_cbranch_scc1 .LBB13_181
; %bb.170:
	v_mov_b32_e32 v0, 0
	v_mov_b32_e32 v1, 0x800
	s_movk_i32 s6, 0x2bd
	s_movk_i32 s12, 0x57a
	s_mov_b32 s7, 0
	s_mov_b64 s[8:9], s[36:37]
	s_branch .LBB13_172
.LBB13_171:                             ;   in Loop: Header=BB13_172 Depth=1
	s_ashr_i32 s11, s10, 31
	s_lshl_b64 s[10:11], s[10:11], 2
	s_add_u32 s10, s36, s10
	s_addc_u32 s11, s37, s11
	s_add_i32 s6, s6, 1
	s_add_i32 s12, s12, 1
	s_add_u32 s8, s8, 4
	s_addc_u32 s9, s9, 0
	s_cmp_eq_u32 s6, s48
	global_store_dword v0, v2, s[10:11]
	s_cbranch_scc1 .LBB13_181
.LBB13_172:                             ; =>This Loop Header: Depth=1
                                        ;     Child Loop BB13_173 Depth 2
	s_lshl_b64 s[10:11], s[6:7], 2
	s_mov_b32 s13, s12
	s_add_u32 s10, s36, s10
	s_addc_u32 s11, s37, s11
	global_load_dword v2, v0, s[10:11]
	s_mov_b64 s[10:11], s[8:9]
	.p2align	6
.LBB13_173:                             ;   Parent Loop BB13_172 Depth=1
                                        ; =>  This Inner Loop Header: Depth=2
	global_load_dword v3, v0, s[10:11]
	s_mov_b32 s16, -1
	s_mov_b32 s17, -1
                                        ; implicit-def: $sgpr15
	s_waitcnt vmcnt(0)
	v_cmp_nlt_f32_e32 vcc_lo, v3, v2
	s_cbranch_vccnz .LBB13_175
; %bb.174:                              ;   in Loop: Header=BB13_173 Depth=2
	s_add_i32 s15, s13, 0xfffffd43
	global_store_dword v1, v3, s[10:11] offset:756
	s_add_u32 s10, s10, 0xfffff50c
	s_addc_u32 s11, s11, -1
	s_cmpk_lt_i32 s15, 0x57a
	s_mov_b32 s16, 0
	s_cselect_b32 s17, -1, 0
.LBB13_175:                             ;   in Loop: Header=BB13_173 Depth=2
	s_andn2_b32 vcc_lo, exec_lo, s17
	s_cbranch_vccz .LBB13_177
; %bb.176:                              ;   in Loop: Header=BB13_173 Depth=2
	s_mov_b32 s13, s15
	s_branch .LBB13_173
.LBB13_177:                             ;   in Loop: Header=BB13_172 Depth=1
	s_andn2_b32 vcc_lo, exec_lo, s16
	s_mov_b32 s11, -1
                                        ; implicit-def: $sgpr10
	s_cbranch_vccz .LBB13_179
; %bb.178:                              ;   in Loop: Header=BB13_172 Depth=1
	s_add_i32 s10, s15, 0xfffffd43
	s_mov_b32 s11, 0
.LBB13_179:                             ;   in Loop: Header=BB13_172 Depth=1
	s_andn2_b32 vcc_lo, exec_lo, s11
	s_cbranch_vccnz .LBB13_171
; %bb.180:                              ;   in Loop: Header=BB13_172 Depth=1
	s_add_i32 s10, s13, 0xfffffd43
	s_branch .LBB13_171
.LBB13_181:
	s_cmpk_lt_i32 s48, 0x12e
	s_cbranch_scc1 .LBB13_193
; %bb.182:
	s_add_u32 s6, s52, s54
	v_mov_b32_e32 v0, 0
	s_addc_u32 s7, s53, s55
	s_add_u32 s6, s6, 0x4b4
	s_addc_u32 s7, s7, 0
	s_movk_i32 s8, 0x12d
	s_movk_i32 s15, 0x25a
	s_mov_b32 s9, 0
	s_branch .LBB13_184
.LBB13_183:                             ;   in Loop: Header=BB13_184 Depth=1
	s_ashr_i32 s11, s10, 31
	s_lshl_b64 s[10:11], s[10:11], 2
	s_add_u32 s10, s36, s10
	s_addc_u32 s11, s37, s11
	s_add_i32 s8, s8, 1
	s_add_i32 s15, s15, 1
	s_add_u32 s6, s6, 4
	s_addc_u32 s7, s7, 0
	s_cmp_lg_u32 s8, s48
	global_store_dword v0, v1, s[10:11]
	s_cbranch_scc0 .LBB13_193
.LBB13_184:                             ; =>This Loop Header: Depth=1
                                        ;     Child Loop BB13_185 Depth 2
	s_lshl_b64 s[10:11], s[8:9], 2
	s_mov_b64 s[12:13], s[6:7]
	s_add_u32 s10, s36, s10
	s_addc_u32 s11, s37, s11
	s_mov_b32 s16, s15
	global_load_dword v1, v0, s[10:11]
	.p2align	6
.LBB13_185:                             ;   Parent Loop BB13_184 Depth=1
                                        ; =>  This Inner Loop Header: Depth=2
	global_load_dword v2, v0, s[12:13] offset:-1204
	s_add_u32 s10, s12, 0xfffffb4c
	s_addc_u32 s11, s13, -1
	s_mov_b32 s18, -1
	s_mov_b32 s19, -1
                                        ; implicit-def: $sgpr17
	s_waitcnt vmcnt(0)
	v_cmp_nlt_f32_e32 vcc_lo, v2, v1
	s_cbranch_vccnz .LBB13_187
; %bb.186:                              ;   in Loop: Header=BB13_185 Depth=2
	s_add_i32 s17, s16, 0xfffffed3
	s_mov_b32 s18, 0
	s_cmpk_lt_i32 s17, 0x25a
	global_store_dword v0, v2, s[12:13]
	s_cselect_b32 s19, -1, 0
.LBB13_187:                             ;   in Loop: Header=BB13_185 Depth=2
	s_andn2_b32 vcc_lo, exec_lo, s19
	s_cbranch_vccz .LBB13_189
; %bb.188:                              ;   in Loop: Header=BB13_185 Depth=2
	s_mov_b64 s[12:13], s[10:11]
	s_mov_b32 s16, s17
	s_branch .LBB13_185
.LBB13_189:                             ;   in Loop: Header=BB13_184 Depth=1
	s_andn2_b32 vcc_lo, exec_lo, s18
	s_mov_b32 s11, -1
                                        ; implicit-def: $sgpr10
	s_cbranch_vccz .LBB13_191
; %bb.190:                              ;   in Loop: Header=BB13_184 Depth=1
	s_add_i32 s10, s17, 0xfffffed3
	s_mov_b32 s11, 0
.LBB13_191:                             ;   in Loop: Header=BB13_184 Depth=1
	s_andn2_b32 vcc_lo, exec_lo, s11
	s_cbranch_vccnz .LBB13_183
; %bb.192:                              ;   in Loop: Header=BB13_184 Depth=1
	s_add_i32 s10, s16, 0xfffffed3
	s_branch .LBB13_183
.LBB13_193:
	s_cmpk_lt_i32 s48, 0x85
	s_cbranch_scc1 .LBB13_205
; %bb.194:
	s_add_u32 s6, s52, s54
	v_mov_b32_e32 v0, 0
	s_addc_u32 s7, s53, s55
	s_add_u32 s6, s6, 0x210
	s_addc_u32 s7, s7, 0
	s_movk_i32 s8, 0x84
	s_movk_i32 s15, 0x108
	s_mov_b32 s9, 0
	s_branch .LBB13_196
.LBB13_195:                             ;   in Loop: Header=BB13_196 Depth=1
	s_ashr_i32 s11, s10, 31
	s_lshl_b64 s[10:11], s[10:11], 2
	s_add_u32 s10, s36, s10
	s_addc_u32 s11, s37, s11
	s_add_i32 s8, s8, 1
	s_add_i32 s15, s15, 1
	s_add_u32 s6, s6, 4
	s_addc_u32 s7, s7, 0
	s_cmp_lg_u32 s8, s48
	global_store_dword v0, v1, s[10:11]
	s_cbranch_scc0 .LBB13_205
.LBB13_196:                             ; =>This Loop Header: Depth=1
                                        ;     Child Loop BB13_197 Depth 2
	s_lshl_b64 s[10:11], s[8:9], 2
	s_mov_b64 s[12:13], s[6:7]
	s_add_u32 s10, s36, s10
	s_addc_u32 s11, s37, s11
	s_mov_b32 s16, s15
	global_load_dword v1, v0, s[10:11]
	.p2align	6
.LBB13_197:                             ;   Parent Loop BB13_196 Depth=1
                                        ; =>  This Inner Loop Header: Depth=2
	global_load_dword v2, v0, s[12:13] offset:-528
	s_add_u32 s10, s12, 0xfffffdf0
	s_addc_u32 s11, s13, -1
	s_mov_b32 s18, -1
	s_mov_b32 s19, -1
                                        ; implicit-def: $sgpr17
	s_waitcnt vmcnt(0)
	v_cmp_nlt_f32_e32 vcc_lo, v2, v1
	s_cbranch_vccnz .LBB13_199
; %bb.198:                              ;   in Loop: Header=BB13_197 Depth=2
	s_add_i32 s17, s16, 0xffffff7c
	s_mov_b32 s18, 0
	s_cmpk_lt_i32 s17, 0x108
	global_store_dword v0, v2, s[12:13]
	s_cselect_b32 s19, -1, 0
.LBB13_199:                             ;   in Loop: Header=BB13_197 Depth=2
	s_andn2_b32 vcc_lo, exec_lo, s19
	s_cbranch_vccz .LBB13_201
; %bb.200:                              ;   in Loop: Header=BB13_197 Depth=2
	s_mov_b64 s[12:13], s[10:11]
	s_mov_b32 s16, s17
	s_branch .LBB13_197
.LBB13_201:                             ;   in Loop: Header=BB13_196 Depth=1
	s_andn2_b32 vcc_lo, exec_lo, s18
	s_mov_b32 s11, -1
                                        ; implicit-def: $sgpr10
	s_cbranch_vccz .LBB13_203
; %bb.202:                              ;   in Loop: Header=BB13_196 Depth=1
	s_add_i32 s10, s17, 0xffffff7c
	s_mov_b32 s11, 0
.LBB13_203:                             ;   in Loop: Header=BB13_196 Depth=1
	s_andn2_b32 vcc_lo, exec_lo, s11
	s_cbranch_vccnz .LBB13_195
; %bb.204:                              ;   in Loop: Header=BB13_196 Depth=1
	s_add_i32 s10, s16, 0xffffff7c
	s_branch .LBB13_195
.LBB13_205:
	s_cmp_lt_i32 s48, 58
	s_cbranch_scc1 .LBB13_217
; %bb.206:
	s_add_u32 s6, s52, s54
	v_mov_b32_e32 v0, 0
	s_addc_u32 s7, s53, s55
	s_add_u32 s6, s6, 0xe4
	s_addc_u32 s7, s7, 0
	s_mov_b32 s8, 57
	s_movk_i32 s15, 0x72
	s_mov_b32 s9, 0
	s_branch .LBB13_208
.LBB13_207:                             ;   in Loop: Header=BB13_208 Depth=1
	s_ashr_i32 s11, s10, 31
	s_lshl_b64 s[10:11], s[10:11], 2
	s_add_u32 s10, s36, s10
	s_addc_u32 s11, s37, s11
	s_add_i32 s8, s8, 1
	s_add_i32 s15, s15, 1
	s_add_u32 s6, s6, 4
	s_addc_u32 s7, s7, 0
	s_cmp_lg_u32 s8, s48
	global_store_dword v0, v1, s[10:11]
	s_cbranch_scc0 .LBB13_217
.LBB13_208:                             ; =>This Loop Header: Depth=1
                                        ;     Child Loop BB13_209 Depth 2
	s_lshl_b64 s[10:11], s[8:9], 2
	s_mov_b64 s[12:13], s[6:7]
	s_add_u32 s10, s36, s10
	s_addc_u32 s11, s37, s11
	s_mov_b32 s16, s15
	global_load_dword v1, v0, s[10:11]
	.p2align	6
.LBB13_209:                             ;   Parent Loop BB13_208 Depth=1
                                        ; =>  This Inner Loop Header: Depth=2
	global_load_dword v2, v0, s[12:13] offset:-228
	s_add_u32 s10, s12, 0xffffff1c
	s_addc_u32 s11, s13, -1
	s_mov_b32 s18, -1
	s_mov_b32 s19, -1
                                        ; implicit-def: $sgpr17
	s_waitcnt vmcnt(0)
	v_cmp_nlt_f32_e32 vcc_lo, v2, v1
	s_cbranch_vccnz .LBB13_211
; %bb.210:                              ;   in Loop: Header=BB13_209 Depth=2
	s_sub_i32 s17, s16, 57
	s_mov_b32 s18, 0
	s_cmpk_lt_i32 s17, 0x72
	global_store_dword v0, v2, s[12:13]
	s_cselect_b32 s19, -1, 0
.LBB13_211:                             ;   in Loop: Header=BB13_209 Depth=2
	s_andn2_b32 vcc_lo, exec_lo, s19
	s_cbranch_vccz .LBB13_213
; %bb.212:                              ;   in Loop: Header=BB13_209 Depth=2
	s_mov_b64 s[12:13], s[10:11]
	s_mov_b32 s16, s17
	s_branch .LBB13_209
.LBB13_213:                             ;   in Loop: Header=BB13_208 Depth=1
	s_andn2_b32 vcc_lo, exec_lo, s18
	s_mov_b32 s11, -1
                                        ; implicit-def: $sgpr10
	s_cbranch_vccz .LBB13_215
; %bb.214:                              ;   in Loop: Header=BB13_208 Depth=1
	s_sub_i32 s10, s17, 57
	s_mov_b32 s11, 0
.LBB13_215:                             ;   in Loop: Header=BB13_208 Depth=1
	s_andn2_b32 vcc_lo, exec_lo, s11
	s_cbranch_vccnz .LBB13_207
; %bb.216:                              ;   in Loop: Header=BB13_208 Depth=1
	s_sub_i32 s10, s16, 57
	s_branch .LBB13_207
.LBB13_217:
	s_cmp_lt_i32 s48, 24
	s_cbranch_scc1 .LBB13_229
; %bb.218:
	s_add_u32 s6, s52, s54
	v_mov_b32_e32 v0, 0
	s_addc_u32 s7, s53, s55
	s_add_u32 s6, s6, 0x5c
	s_addc_u32 s7, s7, 0
	s_mov_b32 s8, 23
	s_mov_b32 s15, 46
	;; [unrolled: 1-line block ×3, first 2 shown]
	s_branch .LBB13_220
.LBB13_219:                             ;   in Loop: Header=BB13_220 Depth=1
	s_ashr_i32 s11, s10, 31
	s_lshl_b64 s[10:11], s[10:11], 2
	s_add_u32 s10, s36, s10
	s_addc_u32 s11, s37, s11
	s_add_i32 s8, s8, 1
	s_add_i32 s15, s15, 1
	s_add_u32 s6, s6, 4
	s_addc_u32 s7, s7, 0
	s_cmp_lg_u32 s8, s48
	global_store_dword v0, v1, s[10:11]
	s_cbranch_scc0 .LBB13_229
.LBB13_220:                             ; =>This Loop Header: Depth=1
                                        ;     Child Loop BB13_221 Depth 2
	s_lshl_b64 s[10:11], s[8:9], 2
	s_mov_b64 s[12:13], s[6:7]
	s_add_u32 s10, s36, s10
	s_addc_u32 s11, s37, s11
	s_mov_b32 s16, s15
	global_load_dword v1, v0, s[10:11]
	.p2align	6
.LBB13_221:                             ;   Parent Loop BB13_220 Depth=1
                                        ; =>  This Inner Loop Header: Depth=2
	global_load_dword v2, v0, s[12:13] offset:-92
	s_add_u32 s10, s12, 0xffffffa4
	s_addc_u32 s11, s13, -1
	s_mov_b32 s18, -1
	s_mov_b32 s19, -1
                                        ; implicit-def: $sgpr17
	s_waitcnt vmcnt(0)
	v_cmp_nlt_f32_e32 vcc_lo, v2, v1
	s_cbranch_vccnz .LBB13_223
; %bb.222:                              ;   in Loop: Header=BB13_221 Depth=2
	s_sub_i32 s17, s16, 23
	s_mov_b32 s18, 0
	s_cmp_lt_i32 s17, 46
	global_store_dword v0, v2, s[12:13]
	s_cselect_b32 s19, -1, 0
.LBB13_223:                             ;   in Loop: Header=BB13_221 Depth=2
	s_andn2_b32 vcc_lo, exec_lo, s19
	s_cbranch_vccz .LBB13_225
; %bb.224:                              ;   in Loop: Header=BB13_221 Depth=2
	s_mov_b64 s[12:13], s[10:11]
	s_mov_b32 s16, s17
	s_branch .LBB13_221
.LBB13_225:                             ;   in Loop: Header=BB13_220 Depth=1
	s_andn2_b32 vcc_lo, exec_lo, s18
	s_mov_b32 s11, -1
                                        ; implicit-def: $sgpr10
	s_cbranch_vccz .LBB13_227
; %bb.226:                              ;   in Loop: Header=BB13_220 Depth=1
	s_sub_i32 s10, s17, 23
	s_mov_b32 s11, 0
.LBB13_227:                             ;   in Loop: Header=BB13_220 Depth=1
	s_andn2_b32 vcc_lo, exec_lo, s11
	s_cbranch_vccnz .LBB13_219
; %bb.228:                              ;   in Loop: Header=BB13_220 Depth=1
	s_sub_i32 s10, s16, 23
	s_branch .LBB13_219
.LBB13_229:
	s_cmp_lt_i32 s48, 11
	s_cbranch_scc1 .LBB13_241
; %bb.230:
	s_add_u32 s6, s52, s54
	v_mov_b32_e32 v0, 0
	s_addc_u32 s7, s53, s55
	s_add_u32 s6, s6, 40
	s_addc_u32 s7, s7, 0
	s_mov_b32 s8, 10
	s_mov_b32 s15, 20
	;; [unrolled: 1-line block ×3, first 2 shown]
	s_branch .LBB13_232
.LBB13_231:                             ;   in Loop: Header=BB13_232 Depth=1
	s_ashr_i32 s11, s10, 31
	s_lshl_b64 s[10:11], s[10:11], 2
	s_add_u32 s10, s36, s10
	s_addc_u32 s11, s37, s11
	s_add_i32 s8, s8, 1
	s_add_i32 s15, s15, 1
	s_add_u32 s6, s6, 4
	s_addc_u32 s7, s7, 0
	s_cmp_lg_u32 s8, s48
	global_store_dword v0, v1, s[10:11]
	s_cbranch_scc0 .LBB13_241
.LBB13_232:                             ; =>This Loop Header: Depth=1
                                        ;     Child Loop BB13_233 Depth 2
	s_lshl_b64 s[10:11], s[8:9], 2
	s_mov_b64 s[12:13], s[6:7]
	s_add_u32 s10, s36, s10
	s_addc_u32 s11, s37, s11
	s_mov_b32 s16, s15
	global_load_dword v1, v0, s[10:11]
	.p2align	6
.LBB13_233:                             ;   Parent Loop BB13_232 Depth=1
                                        ; =>  This Inner Loop Header: Depth=2
	global_load_dword v2, v0, s[12:13] offset:-40
	s_add_u32 s10, s12, 0xffffffd8
	s_addc_u32 s11, s13, -1
	s_mov_b32 s18, -1
	s_mov_b32 s19, -1
                                        ; implicit-def: $sgpr17
	s_waitcnt vmcnt(0)
	v_cmp_nlt_f32_e32 vcc_lo, v2, v1
	s_cbranch_vccnz .LBB13_235
; %bb.234:                              ;   in Loop: Header=BB13_233 Depth=2
	s_add_i32 s17, s16, -10
	s_mov_b32 s18, 0
	s_cmp_lt_i32 s17, 20
	global_store_dword v0, v2, s[12:13]
	s_cselect_b32 s19, -1, 0
.LBB13_235:                             ;   in Loop: Header=BB13_233 Depth=2
	s_andn2_b32 vcc_lo, exec_lo, s19
	s_cbranch_vccz .LBB13_237
; %bb.236:                              ;   in Loop: Header=BB13_233 Depth=2
	s_mov_b64 s[12:13], s[10:11]
	s_mov_b32 s16, s17
	s_branch .LBB13_233
.LBB13_237:                             ;   in Loop: Header=BB13_232 Depth=1
	s_andn2_b32 vcc_lo, exec_lo, s18
	s_mov_b32 s11, -1
                                        ; implicit-def: $sgpr10
	s_cbranch_vccz .LBB13_239
; %bb.238:                              ;   in Loop: Header=BB13_232 Depth=1
	s_add_i32 s10, s17, -10
	s_mov_b32 s11, 0
.LBB13_239:                             ;   in Loop: Header=BB13_232 Depth=1
	s_andn2_b32 vcc_lo, exec_lo, s11
	s_cbranch_vccnz .LBB13_231
; %bb.240:                              ;   in Loop: Header=BB13_232 Depth=1
	s_add_i32 s10, s16, -10
	s_branch .LBB13_231
.LBB13_241:
	s_cmp_lt_i32 s48, 5
	s_cbranch_scc1 .LBB13_253
; %bb.242:
	s_add_u32 s6, s52, s54
	v_mov_b32_e32 v0, 0
	s_addc_u32 s7, s53, s55
	s_add_u32 s6, s6, 16
	s_addc_u32 s7, s7, 0
	s_mov_b32 s8, 4
	s_mov_b32 s15, 8
	s_mov_b32 s9, 0
	s_inst_prefetch 0x1
	s_branch .LBB13_244
	.p2align	6
.LBB13_243:                             ;   in Loop: Header=BB13_244 Depth=1
	s_ashr_i32 s11, s10, 31
	s_lshl_b64 s[10:11], s[10:11], 2
	s_add_u32 s10, s36, s10
	s_addc_u32 s11, s37, s11
	s_add_i32 s8, s8, 1
	s_add_i32 s15, s15, 1
	s_add_u32 s6, s6, 4
	s_addc_u32 s7, s7, 0
	s_cmp_lg_u32 s8, s48
	global_store_dword v0, v1, s[10:11]
	s_cbranch_scc0 .LBB13_253
.LBB13_244:                             ; =>This Loop Header: Depth=1
                                        ;     Child Loop BB13_245 Depth 2
	s_lshl_b64 s[10:11], s[8:9], 2
	s_mov_b64 s[12:13], s[6:7]
	s_add_u32 s10, s36, s10
	s_addc_u32 s11, s37, s11
	s_mov_b32 s16, s15
	global_load_dword v1, v0, s[10:11]
	.p2align	6
.LBB13_245:                             ;   Parent Loop BB13_244 Depth=1
                                        ; =>  This Inner Loop Header: Depth=2
	global_load_dword v2, v0, s[12:13] offset:-16
	s_add_u32 s10, s12, -16
	s_addc_u32 s11, s13, -1
	s_mov_b32 s18, -1
	s_mov_b32 s19, -1
                                        ; implicit-def: $sgpr17
	s_waitcnt vmcnt(0)
	v_cmp_nlt_f32_e32 vcc_lo, v2, v1
	s_cbranch_vccnz .LBB13_247
; %bb.246:                              ;   in Loop: Header=BB13_245 Depth=2
	s_add_i32 s17, s16, -4
	s_mov_b32 s18, 0
	s_cmp_lt_i32 s17, 8
	global_store_dword v0, v2, s[12:13]
	s_cselect_b32 s19, -1, 0
.LBB13_247:                             ;   in Loop: Header=BB13_245 Depth=2
	s_andn2_b32 vcc_lo, exec_lo, s19
	s_cbranch_vccz .LBB13_249
; %bb.248:                              ;   in Loop: Header=BB13_245 Depth=2
	s_mov_b64 s[12:13], s[10:11]
	s_mov_b32 s16, s17
	s_branch .LBB13_245
.LBB13_249:                             ;   in Loop: Header=BB13_244 Depth=1
	s_andn2_b32 vcc_lo, exec_lo, s18
	s_mov_b32 s11, -1
                                        ; implicit-def: $sgpr10
	s_cbranch_vccz .LBB13_251
; %bb.250:                              ;   in Loop: Header=BB13_244 Depth=1
	s_add_i32 s10, s17, -4
	s_mov_b32 s11, 0
.LBB13_251:                             ;   in Loop: Header=BB13_244 Depth=1
	s_andn2_b32 vcc_lo, exec_lo, s11
	s_cbranch_vccnz .LBB13_243
; %bb.252:                              ;   in Loop: Header=BB13_244 Depth=1
	s_add_i32 s10, s16, -4
	s_branch .LBB13_243
.LBB13_253:
	s_inst_prefetch 0x2
	s_cmp_lt_i32 s48, 2
	s_mov_b32 s15, 2
	s_cbranch_scc1 .LBB13_262
; %bb.254:
	s_add_u32 s6, s52, s54
	v_mov_b32_e32 v0, 0
	s_addc_u32 s7, s53, s55
	s_add_u32 s6, s6, 4
	s_addc_u32 s7, s7, 0
	s_mov_b32 s8, 1
	s_mov_b32 s9, 0
	s_inst_prefetch 0x1
	s_branch .LBB13_256
	.p2align	6
.LBB13_255:                             ;   in Loop: Header=BB13_256 Depth=1
	s_ashr_i32 s11, s10, 31
	s_lshl_b64 s[10:11], s[10:11], 2
	s_add_u32 s10, s36, s10
	s_addc_u32 s11, s37, s11
	s_add_i32 s8, s8, 1
	s_add_i32 s15, s15, 1
	s_add_u32 s6, s6, 4
	s_addc_u32 s7, s7, 0
	s_cmp_eq_u32 s8, s48
	global_store_dword v0, v1, s[10:11]
	s_cbranch_scc1 .LBB13_262
.LBB13_256:                             ; =>This Loop Header: Depth=1
                                        ;     Child Loop BB13_258 Depth 2
	s_lshl_b64 s[10:11], s[8:9], 2
	s_mov_b64 s[12:13], s[6:7]
	s_add_u32 s10, s36, s10
	s_addc_u32 s11, s37, s11
	s_mov_b32 s17, s15
	global_load_dword v1, v0, s[10:11]
	s_branch .LBB13_258
	.p2align	6
.LBB13_257:                             ;   in Loop: Header=BB13_258 Depth=2
	s_andn2_b32 vcc_lo, exec_lo, s19
	s_mov_b64 s[12:13], s[10:11]
	s_cbranch_vccz .LBB13_260
.LBB13_258:                             ;   Parent Loop BB13_256 Depth=1
                                        ; =>  This Inner Loop Header: Depth=2
	global_load_dword v2, v0, s[12:13] offset:-4
	s_add_u32 s10, s12, -4
	s_mov_b32 s16, s17
	s_addc_u32 s11, s13, -1
	s_mov_b32 s18, -1
	s_mov_b32 s19, -1
                                        ; implicit-def: $sgpr17
	s_waitcnt vmcnt(0)
	v_cmp_nlt_f32_e32 vcc_lo, v2, v1
	s_cbranch_vccnz .LBB13_257
; %bb.259:                              ;   in Loop: Header=BB13_258 Depth=2
	s_add_i32 s17, s16, -1
	s_mov_b32 s18, 0
	s_cmp_lt_i32 s17, 2
	global_store_dword v0, v2, s[12:13]
	s_cselect_b32 s19, -1, 0
	s_branch .LBB13_257
.LBB13_260:                             ;   in Loop: Header=BB13_256 Depth=1
	s_and_b32 vcc_lo, exec_lo, s18
	s_mov_b32 s10, 0
	s_cbranch_vccz .LBB13_255
; %bb.261:                              ;   in Loop: Header=BB13_256 Depth=1
	s_add_i32 s10, s16, -1
	s_branch .LBB13_255
.LBB13_262:
	s_inst_prefetch 0x2
	s_or_b32 exec_lo, exec_lo, s14
	s_cmp_lt_i32 s48, 2
	s_mov_b32 s59, 0
	s_cselect_b32 s9, -1, 0
	s_waitcnt_vscnt null, 0x0
	s_and_b32 vcc_lo, exec_lo, s9
	s_barrier
	buffer_gl0_inv
	s_cbranch_vccnz .LBB13_270
; %bb.263:
	s_add_i32 s8, s48, -1
	s_mov_b32 s9, -1
	s_mov_b32 s6, 0
	s_mov_b32 s7, exec_lo
	v_cmpx_gt_u32_e64 s8, v40
	s_cbranch_execz .LBB13_272
; %bb.264:
	v_mov_b32_e32 v1, 0
	v_mov_b32_e32 v0, v40
	s_mov_b32 s9, 0
                                        ; implicit-def: $sgpr10
	s_inst_prefetch 0x1
	s_branch .LBB13_266
	.p2align	6
.LBB13_265:                             ;   in Loop: Header=BB13_266 Depth=1
	s_or_b32 exec_lo, exec_lo, s13
	s_xor_b32 s11, s12, -1
	s_and_b32 s6, exec_lo, s6
	s_or_b32 s9, s6, s9
	s_andn2_b32 s6, s10, exec_lo
	s_and_b32 s10, s11, exec_lo
	s_or_b32 s10, s6, s10
	s_andn2_b32 exec_lo, exec_lo, s9
	s_cbranch_execz .LBB13_271
.LBB13_266:                             ; =>This Inner Loop Header: Depth=1
	v_lshlrev_b64 v[2:3], 2, v[0:1]
	s_mov_b32 s12, exec_lo
	v_add_co_u32 v2, vcc_lo, s36, v2
	v_add_co_ci_u32_e64 v3, null, s37, v3, vcc_lo
	global_load_dword v4, v[2:3], off
	s_waitcnt vmcnt(0)
	v_cmp_u_f32_e64 s11, v4, v4
	v_cmpx_o_f32_e32 v4, v4
	s_cbranch_execz .LBB13_268
; %bb.267:                              ;   in Loop: Header=BB13_266 Depth=1
	global_load_dword v2, v[2:3], off offset:4
	s_andn2_b32 s11, s11, exec_lo
	s_waitcnt vmcnt(0)
	v_cmp_u_f32_e32 vcc_lo, v2, v2
	v_cmp_ge_f32_e64 s6, v4, v2
	s_or_b32 s6, vcc_lo, s6
	s_and_b32 s6, s6, exec_lo
	s_or_b32 s11, s11, s6
.LBB13_268:                             ;   in Loop: Header=BB13_266 Depth=1
	s_or_b32 exec_lo, exec_lo, s12
	s_mov_b32 s6, -1
	s_mov_b32 s12, -1
	s_and_saveexec_b32 s13, s11
	s_cbranch_execz .LBB13_265
; %bb.269:                              ;   in Loop: Header=BB13_266 Depth=1
	v_add_nc_u32_e32 v0, s46, v0
	s_xor_b32 s12, exec_lo, -1
	v_cmp_le_u32_e32 vcc_lo, s8, v0
	s_orn2_b32 s6, vcc_lo, exec_lo
	s_branch .LBB13_265
.LBB13_270:
	s_mov_b32 s6, 0
	s_branch .LBB13_273
.LBB13_271:
	s_inst_prefetch 0x2
	s_or_b32 exec_lo, exec_lo, s9
	s_mov_b32 s6, exec_lo
	s_orn2_b32 s9, s10, exec_lo
.LBB13_272:
	s_or_b32 exec_lo, exec_lo, s7
.LBB13_273:
	s_and_saveexec_b32 s7, s9
	s_cbranch_execz .LBB13_275
; %bb.274:
	s_mov_b32 s59, exec_lo
	s_barrier
	s_andn2_b32 s6, s6, exec_lo
	buffer_gl0_inv
.LBB13_275:
	s_or_b32 exec_lo, exec_lo, s7
	s_and_saveexec_b32 s40, s6
	s_cbranch_execz .LBB13_277
; %bb.276:
	s_add_u32 s8, s4, 0x90
	s_addc_u32 s9, s5, 0
	s_getpc_b64 s[4:5]
	s_add_u32 s4, s4, __PRETTY_FUNCTION__._ZN9rocsolver6v33100L21shell_sort_descendingIfiEEvT0_PT_PS2_@rel32@lo+4
	s_addc_u32 s5, s5, __PRETTY_FUNCTION__._ZN9rocsolver6v33100L21shell_sort_descendingIfiEEvT0_PT_PS2_@rel32@hi+12
	v_mov_b32_e32 v0, s4
	v_mov_b32_e32 v1, s5
	s_getpc_b64 s[6:7]
	s_add_u32 s6, s6, __assert_fail@rel32@lo+4
	s_addc_u32 s7, s7, __assert_fail@rel32@hi+12
	s_swappc_b64 s[30:31], s[6:7]
	s_or_b32 s56, s56, exec_lo
.LBB13_277:
	s_or_b32 exec_lo, exec_lo, s40
.LBB13_278:
	s_and_saveexec_b32 s4, s56
; %bb.279:
	; divergent unreachable
; %bb.280:
	s_or_b32 exec_lo, exec_lo, s4
	s_and_saveexec_b32 s4, s59
	s_cbranch_execz .LBB13_282
; %bb.281:
	s_waitcnt_vscnt null, 0x0
	s_barrier
	buffer_gl0_inv
.LBB13_282:
	s_or_b32 exec_lo, exec_lo, s4
	s_cbranch_execnz .LBB13_306
.LBB13_283:
	s_cmp_lt_i32 s48, 2
	s_cbranch_scc1 .LBB13_306
; %bb.284:
	s_cmp_lg_u32 s49, 0
	v_mul_lo_u32 v0, s47, v40
	s_cselect_b32 s18, -1, 0
	s_cmp_lg_u32 s50, 0
	v_mul_lo_u32 v1, s61, v40
	s_cselect_b32 s19, -1, 0
	s_cmp_lg_u32 s51, 0
	v_cmp_eq_u32_e64 s4, 0, v40
	s_cselect_b32 s20, -1, 0
	s_add_i32 s21, s48, -2
	v_cmp_gt_i32_e64 s5, s49, v40
	v_cmp_gt_i32_e64 s6, s50, v40
	;; [unrolled: 1-line block ×3, first 2 shown]
	s_add_u32 s8, s52, s54
	v_mov_b32_e32 v2, 0
	s_addc_u32 s11, s53, s55
	s_add_u32 s10, s8, 4
	s_mov_b32 s9, 0
	s_addc_u32 s11, s11, 0
	s_mul_i32 s22, s47, s25
	s_mul_i32 s23, s61, s25
	s_mov_b32 s24, 0
	s_mov_b32 s30, 0
	s_branch .LBB13_287
.LBB13_285:                             ;   in Loop: Header=BB13_287 Depth=1
	s_or_b32 exec_lo, exec_lo, s13
	s_waitcnt_vscnt null, 0x0
	s_barrier
	buffer_gl0_inv
.LBB13_286:                             ;   in Loop: Header=BB13_287 Depth=1
	s_add_u32 s10, s10, 4
	s_addc_u32 s11, s11, 0
	s_add_i32 s24, s24, s43
	s_cmp_eq_u32 s8, s21
	s_cbranch_scc1 .LBB13_306
.LBB13_287:                             ; =>This Loop Header: Depth=1
                                        ;     Child Loop BB13_288 Depth 2
                                        ;     Child Loop BB13_295 Depth 2
	;; [unrolled: 1-line block ×4, first 2 shown]
	s_mov_b32 s8, s30
	s_mov_b64 s[16:17], s[10:11]
	s_lshl_b64 s[12:13], s[8:9], 2
	s_add_u32 s14, s36, s12
	s_addc_u32 s15, s37, s13
	s_add_i32 s30, s30, 1
	global_load_dword v3, v2, s[14:15]
	s_mov_b32 s13, s30
	s_mov_b32 s12, s8
.LBB13_288:                             ;   Parent Loop BB13_287 Depth=1
                                        ; =>  This Inner Loop Header: Depth=2
	global_load_dword v4, v2, s[16:17]
	s_waitcnt vmcnt(0)
	v_cmp_gt_f32_e32 vcc_lo, v4, v3
	s_and_b32 s31, vcc_lo, exec_lo
	v_cndmask_b32_e32 v3, v3, v4, vcc_lo
	s_cselect_b32 s12, s13, s12
	s_add_i32 s13, s13, 1
	s_add_u32 s16, s16, 4
	s_addc_u32 s17, s17, 0
	s_cmp_lg_u32 s48, s13
	s_cbranch_scc1 .LBB13_288
; %bb.289:                              ;   in Loop: Header=BB13_287 Depth=1
	s_cmp_eq_u32 s12, s8
	s_waitcnt_vscnt null, 0x0
	s_barrier
	buffer_gl0_inv
	s_cbranch_scc1 .LBB13_286
; %bb.290:                              ;   in Loop: Header=BB13_287 Depth=1
	s_and_saveexec_b32 s16, s4
	s_cbranch_execz .LBB13_292
; %bb.291:                              ;   in Loop: Header=BB13_287 Depth=1
	global_load_dword v4, v2, s[14:15]
	s_ashr_i32 s13, s12, 31
	s_lshl_b64 s[40:41], s[12:13], 2
	s_add_u32 s40, s36, s40
	s_addc_u32 s41, s37, s41
	s_waitcnt vmcnt(0)
	global_store_dword v2, v4, s[40:41]
	global_store_dword v2, v3, s[14:15]
.LBB13_292:                             ;   in Loop: Header=BB13_287 Depth=1
	s_or_b32 exec_lo, exec_lo, s16
	s_andn2_b32 vcc_lo, exec_lo, s18
	s_cbranch_vccnz .LBB13_297
; %bb.293:                              ;   in Loop: Header=BB13_287 Depth=1
	s_and_saveexec_b32 s13, s5
	s_cbranch_execz .LBB13_296
; %bb.294:                              ;   in Loop: Header=BB13_287 Depth=1
	v_mov_b32_e32 v3, v0
	v_mov_b32_e32 v4, v40
	s_mov_b32 s14, 0
	.p2align	6
.LBB13_295:                             ;   Parent Loop BB13_287 Depth=1
                                        ; =>  This Inner Loop Header: Depth=2
	v_add_nc_u32_e32 v5, s8, v3
	v_add_nc_u32_e32 v7, s12, v3
	;; [unrolled: 1-line block ×4, first 2 shown]
	v_ashrrev_i32_e32 v6, 31, v5
	v_ashrrev_i32_e32 v8, 31, v7
	v_lshlrev_b64 v[5:6], 2, v[5:6]
	v_lshlrev_b64 v[7:8], 2, v[7:8]
	v_add_co_u32 v5, vcc_lo, s34, v5
	v_add_co_ci_u32_e64 v6, null, s35, v6, vcc_lo
	v_add_co_u32 v7, vcc_lo, s34, v7
	v_add_co_ci_u32_e64 v8, null, s35, v8, vcc_lo
	s_clause 0x1
	global_load_dword v9, v[5:6], off
	global_load_dword v10, v[7:8], off
	v_cmp_le_i32_e32 vcc_lo, s49, v4
	s_waitcnt vmcnt(1)
	global_store_dword v[7:8], v9, off
	s_waitcnt vmcnt(0)
	global_store_dword v[5:6], v10, off
	s_or_b32 s14, vcc_lo, s14
	s_andn2_b32 exec_lo, exec_lo, s14
	s_cbranch_execnz .LBB13_295
.LBB13_296:                             ;   in Loop: Header=BB13_287 Depth=1
	s_or_b32 exec_lo, exec_lo, s13
	s_waitcnt_vscnt null, 0x0
	s_barrier
	buffer_gl0_inv
.LBB13_297:                             ;   in Loop: Header=BB13_287 Depth=1
	s_andn2_b32 vcc_lo, exec_lo, s19
	s_cbranch_vccnz .LBB13_302
; %bb.298:                              ;   in Loop: Header=BB13_287 Depth=1
	s_and_saveexec_b32 s13, s6
	s_cbranch_execz .LBB13_301
; %bb.299:                              ;   in Loop: Header=BB13_287 Depth=1
	v_mov_b32_e32 v3, v40
	s_mul_i32 s14, s12, s43
	s_mov_b32 s15, 0
	.p2align	6
.LBB13_300:                             ;   Parent Loop BB13_287 Depth=1
                                        ; =>  This Inner Loop Header: Depth=2
	v_add_nc_u32_e32 v4, s24, v3
	v_add_nc_u32_e32 v6, s14, v3
	;; [unrolled: 1-line block ×3, first 2 shown]
	v_ashrrev_i32_e32 v5, 31, v4
	v_ashrrev_i32_e32 v7, 31, v6
	v_lshlrev_b64 v[4:5], 2, v[4:5]
	v_lshlrev_b64 v[6:7], 2, v[6:7]
	v_add_co_u32 v4, vcc_lo, s28, v4
	v_add_co_ci_u32_e64 v5, null, s29, v5, vcc_lo
	v_add_co_u32 v6, vcc_lo, s28, v6
	v_add_co_ci_u32_e64 v7, null, s29, v7, vcc_lo
	s_clause 0x1
	global_load_dword v8, v[4:5], off
	global_load_dword v9, v[6:7], off
	v_cmp_le_i32_e32 vcc_lo, s50, v3
	s_waitcnt vmcnt(1)
	global_store_dword v[6:7], v8, off
	s_waitcnt vmcnt(0)
	global_store_dword v[4:5], v9, off
	s_or_b32 s15, vcc_lo, s15
	s_andn2_b32 exec_lo, exec_lo, s15
	s_cbranch_execnz .LBB13_300
.LBB13_301:                             ;   in Loop: Header=BB13_287 Depth=1
	s_or_b32 exec_lo, exec_lo, s13
	s_waitcnt_vscnt null, 0x0
	s_barrier
	buffer_gl0_inv
.LBB13_302:                             ;   in Loop: Header=BB13_287 Depth=1
	s_andn2_b32 vcc_lo, exec_lo, s20
	s_cbranch_vccnz .LBB13_286
; %bb.303:                              ;   in Loop: Header=BB13_287 Depth=1
	s_and_saveexec_b32 s13, s7
	s_cbranch_execz .LBB13_285
; %bb.304:                              ;   in Loop: Header=BB13_287 Depth=1
	v_mov_b32_e32 v3, v1
	v_mov_b32_e32 v4, v40
	s_mov_b32 s14, 0
	.p2align	6
.LBB13_305:                             ;   Parent Loop BB13_287 Depth=1
                                        ; =>  This Inner Loop Header: Depth=2
	v_add_nc_u32_e32 v5, s8, v3
	v_add_nc_u32_e32 v7, s12, v3
	;; [unrolled: 1-line block ×4, first 2 shown]
	v_ashrrev_i32_e32 v6, 31, v5
	v_ashrrev_i32_e32 v8, 31, v7
	v_lshlrev_b64 v[5:6], 2, v[5:6]
	v_lshlrev_b64 v[7:8], 2, v[7:8]
	v_add_co_u32 v5, vcc_lo, s44, v5
	v_add_co_ci_u32_e64 v6, null, s45, v6, vcc_lo
	v_add_co_u32 v7, vcc_lo, s44, v7
	v_add_co_ci_u32_e64 v8, null, s45, v8, vcc_lo
	s_clause 0x1
	global_load_dword v9, v[5:6], off
	global_load_dword v10, v[7:8], off
	v_cmp_le_i32_e32 vcc_lo, s51, v4
	s_waitcnt vmcnt(1)
	global_store_dword v[7:8], v9, off
	s_waitcnt vmcnt(0)
	global_store_dword v[5:6], v10, off
	s_or_b32 s14, vcc_lo, s14
	s_andn2_b32 exec_lo, exec_lo, s14
	s_cbranch_execnz .LBB13_305
	s_branch .LBB13_285
.LBB13_306:
	s_mov_b32 s6, 0
.LBB13_307:
	s_andn2_b32 vcc_lo, exec_lo, s6
	s_cbranch_vccnz .LBB13_310
; %bb.308:
	s_mov_b32 s4, exec_lo
	v_cmpx_eq_u32_e32 0, v40
	s_cbranch_execz .LBB13_310
; %bb.309:
	v_mov_b32_e32 v0, 0
	v_mov_b32_e32 v1, s42
	s_add_u32 s4, s38, s26
	s_addc_u32 s5, s39, s27
	global_store_dword v0, v1, s[4:5]
.LBB13_310:
	s_endpgm
	.section	.rodata,"a",@progbits
	.p2align	6, 0x0
	.amdhsa_kernel _ZN9rocsolver6v33100L14bdsqr_finalizeIffPfS2_S2_EEviiiiPT0_lS4_lT1_iilT2_iilT3_iilPiS8_S8_
		.amdhsa_group_segment_fixed_size 0
		.amdhsa_private_segment_fixed_size 64
		.amdhsa_kernarg_size 400
		.amdhsa_user_sgpr_count 8
		.amdhsa_user_sgpr_private_segment_buffer 1
		.amdhsa_user_sgpr_dispatch_ptr 0
		.amdhsa_user_sgpr_queue_ptr 0
		.amdhsa_user_sgpr_kernarg_segment_ptr 1
		.amdhsa_user_sgpr_dispatch_id 0
		.amdhsa_user_sgpr_flat_scratch_init 1
		.amdhsa_user_sgpr_private_segment_size 0
		.amdhsa_wavefront_size32 1
		.amdhsa_uses_dynamic_stack 0
		.amdhsa_system_sgpr_private_segment_wavefront_offset 1
		.amdhsa_system_sgpr_workgroup_id_x 1
		.amdhsa_system_sgpr_workgroup_id_y 1
		.amdhsa_system_sgpr_workgroup_id_z 0
		.amdhsa_system_sgpr_workgroup_info 0
		.amdhsa_system_vgpr_workitem_id 2
		.amdhsa_next_free_vgpr 44
		.amdhsa_next_free_sgpr 64
		.amdhsa_reserve_vcc 1
		.amdhsa_reserve_flat_scratch 1
		.amdhsa_float_round_mode_32 0
		.amdhsa_float_round_mode_16_64 0
		.amdhsa_float_denorm_mode_32 3
		.amdhsa_float_denorm_mode_16_64 3
		.amdhsa_dx10_clamp 1
		.amdhsa_ieee_mode 1
		.amdhsa_fp16_overflow 0
		.amdhsa_workgroup_processor_mode 1
		.amdhsa_memory_ordered 1
		.amdhsa_forward_progress 1
		.amdhsa_shared_vgpr_count 0
		.amdhsa_exception_fp_ieee_invalid_op 0
		.amdhsa_exception_fp_denorm_src 0
		.amdhsa_exception_fp_ieee_div_zero 0
		.amdhsa_exception_fp_ieee_overflow 0
		.amdhsa_exception_fp_ieee_underflow 0
		.amdhsa_exception_fp_ieee_inexact 0
		.amdhsa_exception_int_div_zero 0
	.end_amdhsa_kernel
	.section	.text._ZN9rocsolver6v33100L14bdsqr_finalizeIffPfS2_S2_EEviiiiPT0_lS4_lT1_iilT2_iilT3_iilPiS8_S8_,"axG",@progbits,_ZN9rocsolver6v33100L14bdsqr_finalizeIffPfS2_S2_EEviiiiPT0_lS4_lT1_iilT2_iilT3_iilPiS8_S8_,comdat
.Lfunc_end13:
	.size	_ZN9rocsolver6v33100L14bdsqr_finalizeIffPfS2_S2_EEviiiiPT0_lS4_lT1_iilT2_iilT3_iilPiS8_S8_, .Lfunc_end13-_ZN9rocsolver6v33100L14bdsqr_finalizeIffPfS2_S2_EEviiiiPT0_lS4_lT1_iilT2_iilT3_iilPiS8_S8_
                                        ; -- End function
	.set _ZN9rocsolver6v33100L14bdsqr_finalizeIffPfS2_S2_EEviiiiPT0_lS4_lT1_iilT2_iilT3_iilPiS8_S8_.num_vgpr, max(44, .L__assert_fail.num_vgpr)
	.set _ZN9rocsolver6v33100L14bdsqr_finalizeIffPfS2_S2_EEviiiiPT0_lS4_lT1_iilT2_iilT3_iilPiS8_S8_.num_agpr, max(0, .L__assert_fail.num_agpr)
	.set _ZN9rocsolver6v33100L14bdsqr_finalizeIffPfS2_S2_EEviiiiPT0_lS4_lT1_iilT2_iilT3_iilPiS8_S8_.numbered_sgpr, max(64, .L__assert_fail.numbered_sgpr)
	.set _ZN9rocsolver6v33100L14bdsqr_finalizeIffPfS2_S2_EEviiiiPT0_lS4_lT1_iilT2_iilT3_iilPiS8_S8_.num_named_barrier, max(0, .L__assert_fail.num_named_barrier)
	.set _ZN9rocsolver6v33100L14bdsqr_finalizeIffPfS2_S2_EEviiiiPT0_lS4_lT1_iilT2_iilT3_iilPiS8_S8_.private_seg_size, 0+max(.L__assert_fail.private_seg_size)
	.set _ZN9rocsolver6v33100L14bdsqr_finalizeIffPfS2_S2_EEviiiiPT0_lS4_lT1_iilT2_iilT3_iilPiS8_S8_.uses_vcc, or(1, .L__assert_fail.uses_vcc)
	.set _ZN9rocsolver6v33100L14bdsqr_finalizeIffPfS2_S2_EEviiiiPT0_lS4_lT1_iilT2_iilT3_iilPiS8_S8_.uses_flat_scratch, or(1, .L__assert_fail.uses_flat_scratch)
	.set _ZN9rocsolver6v33100L14bdsqr_finalizeIffPfS2_S2_EEviiiiPT0_lS4_lT1_iilT2_iilT3_iilPiS8_S8_.has_dyn_sized_stack, or(0, .L__assert_fail.has_dyn_sized_stack)
	.set _ZN9rocsolver6v33100L14bdsqr_finalizeIffPfS2_S2_EEviiiiPT0_lS4_lT1_iilT2_iilT3_iilPiS8_S8_.has_recursion, or(0, .L__assert_fail.has_recursion)
	.set _ZN9rocsolver6v33100L14bdsqr_finalizeIffPfS2_S2_EEviiiiPT0_lS4_lT1_iilT2_iilT3_iilPiS8_S8_.has_indirect_call, or(0, .L__assert_fail.has_indirect_call)
	.section	.AMDGPU.csdata,"",@progbits
; Kernel info:
; codeLenInByte = 9084
; TotalNumSgprs: 66
; NumVgprs: 44
; ScratchSize: 64
; MemoryBound: 0
; FloatMode: 240
; IeeeMode: 1
; LDSByteSize: 0 bytes/workgroup (compile time only)
; SGPRBlocks: 0
; VGPRBlocks: 5
; NumSGPRsForWavesPerEU: 66
; NumVGPRsForWavesPerEU: 44
; Occupancy: 16
; WaveLimiterHint : 1
; COMPUTE_PGM_RSRC2:SCRATCH_EN: 1
; COMPUTE_PGM_RSRC2:USER_SGPR: 8
; COMPUTE_PGM_RSRC2:TRAP_HANDLER: 0
; COMPUTE_PGM_RSRC2:TGID_X_EN: 1
; COMPUTE_PGM_RSRC2:TGID_Y_EN: 1
; COMPUTE_PGM_RSRC2:TGID_Z_EN: 0
; COMPUTE_PGM_RSRC2:TIDIG_COMP_CNT: 2
	.section	.text._ZN9rocsolver6v33100L10bdsqr_initIddEEviPT0_lS3_lPiiS2_S2_S4_S3_lS4_,"axG",@progbits,_ZN9rocsolver6v33100L10bdsqr_initIddEEviPT0_lS3_lPiiS2_S2_S4_S3_lS4_,comdat
	.globl	_ZN9rocsolver6v33100L10bdsqr_initIddEEviPT0_lS3_lPiiS2_S2_S4_S3_lS4_ ; -- Begin function _ZN9rocsolver6v33100L10bdsqr_initIddEEviPT0_lS3_lPiiS2_S2_S4_S3_lS4_
	.p2align	8
	.type	_ZN9rocsolver6v33100L10bdsqr_initIddEEviPT0_lS3_lPiiS2_S2_S4_S3_lS4_,@function
_ZN9rocsolver6v33100L10bdsqr_initIddEEviPT0_lS3_lPiiS2_S2_S4_S3_lS4_: ; @_ZN9rocsolver6v33100L10bdsqr_initIddEEviPT0_lS3_lPiiS2_S2_S4_S3_lS4_
; %bb.0:
	s_clause 0x1
	s_load_dword s6, s[4:5], 0x0
	s_load_dwordx8 s[8:15], s[4:5], 0x8
	s_mov_b32 s16, s7
	s_ashr_i32 s17, s7, 31
	s_load_dwordx2 s[22:23], s[4:5], 0x28
	s_waitcnt lgkmcnt(0)
	s_ashr_i32 s7, s6, 31
	s_mul_hi_u32 s1, s10, s16
	s_mul_i32 s2, s10, s17
	s_mul_i32 s3, s11, s16
	s_add_i32 s1, s1, s2
	s_mul_i32 s0, s10, s16
	s_add_i32 s1, s1, s3
	s_mul_hi_u32 s2, s14, s16
	s_lshl_b64 s[0:1], s[0:1], 3
	s_mul_i32 s3, s14, s17
	s_add_u32 s20, s8, s0
	s_mul_i32 s10, s15, s16
	s_addc_u32 s21, s9, s1
	s_add_i32 s1, s2, s3
	s_mul_i32 s0, s14, s16
	s_add_i32 s1, s1, s10
	v_cmp_lt_i64_e64 s3, s[6:7], 2
	s_lshl_b64 s[0:1], s[0:1], 3
	v_cmp_gt_i64_e64 s30, s[6:7], 1
	s_add_u32 s24, s12, s0
	s_addc_u32 s25, s13, s1
	s_lshl_b64 s[0:1], s[6:7], 3
	s_add_u32 s18, s20, s0
	s_addc_u32 s19, s21, s1
	s_add_u32 s0, s18, -8
	s_addc_u32 s1, s19, -1
	s_clause 0x1
	s_load_dwordx2 s[8:9], s[20:21], 0x0
	s_load_dwordx2 s[0:1], s[0:1], 0x0
	s_waitcnt lgkmcnt(0)
	v_cmp_ge_f64_e64 s2, s[8:9], s[0:1]
	s_and_b32 s7, s2, exec_lo
	s_cselect_b32 s1, s9, s1
	s_cselect_b32 s0, s8, s0
	s_bitset0_b32 s1, 31
	v_mov_b32_e32 v0, s0
	v_mov_b32_e32 v1, s1
	s_and_b32 vcc_lo, exec_lo, s3
	s_cbranch_vccnz .LBB14_3
; %bb.1:
	v_mov_b32_e32 v0, s0
	v_mov_b32_e32 v3, s1
	;; [unrolled: 1-line block ×4, first 2 shown]
	s_add_i32 s0, s6, -2
	s_mov_b32 s1, 1
.LBB14_2:                               ; =>This Inner Loop Header: Depth=1
	s_and_b32 s3, s2, exec_lo
	s_cselect_b32 s8, s1, s0
	s_add_i32 s3, s1, -1
	s_and_b32 s7, s2, exec_lo
	s_cselect_b32 s10, s3, s0
	s_ashr_i32 s11, s10, 31
	s_lshl_b64 s[10:11], s[10:11], 3
	s_add_u32 s10, s24, s10
	s_addc_u32 s11, s25, s11
	s_ashr_i32 s9, s8, 31
	s_load_dwordx2 s[10:11], s[10:11], 0x0
	s_lshl_b64 s[8:9], s[8:9], 3
	s_add_u32 s8, s20, s8
	s_addc_u32 s9, s21, s9
	s_add_i32 s1, s1, 1
	s_load_dwordx2 s[8:9], s[8:9], 0x0
	s_add_i32 s0, s0, -1
	s_cmp_lg_u32 s1, s6
	s_waitcnt lgkmcnt(0)
	v_add_f64 v[4:5], v[2:3], |s[10:11]|
	v_div_scale_f64 v[6:7], null, v[4:5], v[4:5], v[2:3]
	v_div_scale_f64 v[12:13], vcc_lo, v[2:3], v[4:5], v[2:3]
	v_rcp_f64_e32 v[8:9], v[6:7]
	v_fma_f64 v[10:11], -v[6:7], v[8:9], 1.0
	v_fma_f64 v[8:9], v[8:9], v[10:11], v[8:9]
	v_fma_f64 v[10:11], -v[6:7], v[8:9], 1.0
	v_fma_f64 v[8:9], v[8:9], v[10:11], v[8:9]
	v_mul_f64 v[10:11], v[12:13], v[8:9]
	v_fma_f64 v[6:7], -v[6:7], v[10:11], v[12:13]
	v_div_fmas_f64 v[6:7], v[6:7], v[8:9], v[10:11]
	v_div_fixup_f64 v[2:3], v[6:7], v[4:5], v[2:3]
	v_mul_f64 v[2:3], |s[8:9]|, v[2:3]
	v_cmp_lt_f64_e32 vcc_lo, v[2:3], v[0:1]
	v_cndmask_b32_e32 v1, v1, v3, vcc_lo
	v_cndmask_b32_e32 v0, v0, v2, vcc_lo
	s_cbranch_scc1 .LBB14_2
.LBB14_3:
	v_cvt_f64_i32_e32 v[2:3], s6
	s_clause 0x1
	s_load_dwordx8 s[8:15], s[4:5], 0x38
	s_load_dwordx4 s[0:3], s[4:5], 0x58
	s_lshl_b32 s29, s6, 1
	s_load_dword s4, s[4:5], 0x30
	s_mul_i32 s26, s29, s16
	s_ashr_i32 s27, s26, 31
	s_lshl_b64 s[26:27], s[26:27], 2
	s_waitcnt lgkmcnt(0)
	s_add_u32 s7, s12, s26
	s_mul_i32 s31, s0, s17
	v_cmp_gt_f64_e32 vcc_lo, 0x10000000, v[2:3]
	s_mul_hi_u32 s33, s0, s16
	s_mul_i32 s1, s1, s16
	s_addc_u32 s28, s13, s27
	s_add_i32 s31, s33, s31
	s_mul_i32 s0, s0, s16
	s_add_i32 s1, s31, s1
	s_mov_b32 s31, 1
	s_lshl_b64 s[0:1], s[0:1], 3
	s_mov_b32 s33, 3
	s_add_u32 s0, s14, s0
	s_addc_u32 s1, s15, s1
	s_mov_b32 s15, 0
	s_and_b32 s14, vcc_lo, exec_lo
	s_cselect_b32 s14, 0x100, 0
	v_ldexp_f64 v[2:3], v[2:3], s14
	s_cselect_b32 s14, 0xffffff80, 0
	v_rsq_f64_e32 v[4:5], v[2:3]
	v_cmp_class_f64_e64 vcc_lo, v[2:3], 0x260
	v_mul_f64 v[6:7], v[2:3], v[4:5]
	v_mul_f64 v[4:5], v[4:5], 0.5
	v_fma_f64 v[8:9], -v[4:5], v[6:7], 0.5
	v_fma_f64 v[6:7], v[6:7], v[8:9], v[6:7]
	v_fma_f64 v[4:5], v[4:5], v[8:9], v[4:5]
	v_fma_f64 v[8:9], -v[6:7], v[6:7], v[2:3]
	v_fma_f64 v[6:7], v[8:9], v[4:5], v[6:7]
	v_fma_f64 v[8:9], -v[6:7], v[6:7], v[2:3]
	v_fma_f64 v[4:5], v[8:9], v[4:5], v[6:7]
	v_mul_f64 v[6:7], s[10:11], v[0:1]
	v_ldexp_f64 v[4:5], v[4:5], s14
	s_mov_b32 s14, 0
	v_cndmask_b32_e32 v3, v5, v3, vcc_lo
	v_cndmask_b32_e32 v2, v4, v2, vcc_lo
	v_div_scale_f64 v[4:5], null, v[2:3], v[2:3], v[6:7]
	v_div_scale_f64 v[12:13], vcc_lo, v[6:7], v[2:3], v[6:7]
	v_rcp_f64_e32 v[8:9], v[4:5]
	v_fma_f64 v[10:11], -v[4:5], v[8:9], 1.0
	v_fma_f64 v[8:9], v[8:9], v[10:11], v[8:9]
	v_fma_f64 v[10:11], -v[4:5], v[8:9], 1.0
	v_fma_f64 v[8:9], v[8:9], v[10:11], v[8:9]
	v_mul_f64 v[10:11], v[12:13], v[8:9]
	v_fma_f64 v[4:5], -v[4:5], v[10:11], v[12:13]
	v_div_fmas_f64 v[4:5], v[4:5], v[8:9], v[10:11]
	v_cvt_f64_i32_e32 v[8:9], s4
	v_div_fixup_f64 v[2:3], v[4:5], v[2:3], v[6:7]
	v_mul_f64 v[5:6], s[8:9], v[8:9]
	v_cndmask_b32_e64 v8, 0, 1, s30
	v_mov_b32_e32 v4, 0
	v_cmp_lt_f64_e32 vcc_lo, v[2:3], v[5:6]
	v_cndmask_b32_e32 v3, v3, v6, vcc_lo
	v_cndmask_b32_e32 v2, v2, v5, vcc_lo
	s_andn2_b32 vcc_lo, exec_lo, s30
	s_mov_b32 s30, 0
	global_store_dwordx4 v4, v[0:3], s[0:1]
	s_cbranch_vccnz .LBB14_15
; %bb.4:
	s_add_u32 s4, s12, s26
	s_addc_u32 s5, s13, s27
	s_add_u32 s4, s4, 8
	s_addc_u32 s5, s5, 0
	s_mov_b32 s12, 0
	s_mov_b64 s[8:9], s[24:25]
	s_mov_b64 s[10:11], s[20:21]
	s_branch .LBB14_7
.LBB14_5:                               ;   in Loop: Header=BB14_7 Depth=1
	s_mov_b32 s12, s13
.LBB14_6:                               ;   in Loop: Header=BB14_7 Depth=1
	v_and_b32_e32 v1, 0x7fffffff, v1
	s_waitcnt vmcnt(0)
	v_cmp_nlg_f64_e64 s13, 0x7ff00000, |v[6:7]|
	s_add_i32 s31, s31, 1
	v_cmp_nlg_f64_e32 vcc_lo, 0x7ff00000, v[0:1]
	s_or_b32 s13, s13, vcc_lo
	s_or_b32 s15, s13, s15
	s_add_u32 s4, s4, 16
	s_addc_u32 s5, s5, 0
	s_add_u32 s10, s10, 8
	s_addc_u32 s11, s11, 0
	s_add_i32 s33, s33, 4
	s_add_u32 s8, s8, 8
	s_addc_u32 s9, s9, 0
	s_cmp_eq_u32 s6, s31
	s_cbranch_scc1 .LBB14_15
.LBB14_7:                               ; =>This Inner Loop Header: Depth=1
	s_cmp_ge_i32 s33, s29
	s_cbranch_scc1 .LBB14_9
; %bb.8:                                ;   in Loop: Header=BB14_7 Depth=1
	v_mov_b32_e32 v5, v4
	v_mov_b32_e32 v6, v4
	;; [unrolled: 1-line block ×3, first 2 shown]
	global_store_dwordx4 v4, v[4:7], s[4:5] offset:-8
	s_waitcnt_vscnt null, 0x0
	buffer_gl1_inv
	buffer_gl0_inv
.LBB14_9:                               ;   in Loop: Header=BB14_7 Depth=1
	s_clause 0x1
	global_load_dwordx2 v[0:1], v4, s[8:9]
	global_load_dwordx2 v[6:7], v4, s[10:11]
	s_mov_b32 s26, -1
	s_waitcnt vmcnt(1)
	v_cmp_lt_f64_e64 s13, |v[0:1]|, v[2:3]
	s_and_b32 vcc_lo, exec_lo, s13
                                        ; implicit-def: $sgpr13
	s_cbranch_vccnz .LBB14_11
; %bb.10:                               ;   in Loop: Header=BB14_7 Depth=1
	s_add_i32 s13, s12, 1
	s_mov_b32 s26, 0
.LBB14_11:                              ;   in Loop: Header=BB14_7 Depth=1
	s_andn2_b32 vcc_lo, exec_lo, s26
	s_cbranch_vccnz .LBB14_5
; %bb.12:                               ;   in Loop: Header=BB14_7 Depth=1
	v_mov_b32_e32 v5, v4
	s_add_i32 s13, s31, -1
	s_cmp_ge_i32 s30, s13
	global_store_dwordx2 v4, v[4:5], s[8:9]
	s_cbranch_scc1 .LBB14_14
; %bb.13:                               ;   in Loop: Header=BB14_7 Depth=1
	s_lshl_b32 s26, s14, 2
	v_mov_b32_e32 v9, s30
	s_ashr_i32 s27, s26, 31
	v_mov_b32_e32 v10, s13
	s_lshl_b64 s[26:27], s[26:27], 2
	s_add_i32 s14, s14, 1
	s_add_u32 s26, s7, s26
	s_addc_u32 s27, s28, s27
	global_store_dwordx2 v4, v[9:10], s[26:27] offset:4
.LBB14_14:                              ;   in Loop: Header=BB14_7 Depth=1
	s_add_i32 s12, s12, 1
	s_mov_b32 s30, s31
	s_branch .LBB14_6
.LBB14_15:
	v_mov_b32_e32 v2, 0
	s_add_i32 s4, s6, -1
	s_mov_b32 s5, -1
	s_cmp_lt_i32 s30, s4
	global_load_dwordx2 v[0:1], v2, s[18:19] offset:-8
	s_cbranch_scc0 .LBB14_17
; %bb.16:
	s_lshl_b32 s8, s14, 2
	v_mov_b32_e32 v3, s30
	s_ashr_i32 s9, s8, 31
	v_mov_b32_e32 v4, s4
	s_lshl_b64 s[8:9], s[8:9], 2
	s_add_u32 s8, s7, s8
	s_addc_u32 s9, s28, s9
	global_store_dwordx2 v2, v[3:4], s[8:9] offset:4
.LBB14_17:
	s_waitcnt vmcnt(0)
	v_cmp_nlg_f64_e64 s7, 0x7ff00000, |v[0:1]|
	s_or_b32 s7, s7, s15
	s_andn2_b32 vcc_lo, exec_lo, s7
	s_cbranch_vccz .LBB14_22
; %bb.18:
	s_add_i32 s7, s14, 1
	v_mov_b32_e32 v2, 0
	v_cvt_f64_i32_e32 v[0:1], s7
	s_lshl_b64 s[8:9], s[16:17], 2
	s_mov_b32 s5, 0
	s_add_u32 s8, s22, s8
	v_mov_b32_e32 v3, v2
	s_addc_u32 s9, s23, s9
	s_cmp_lt_i32 s14, 0
	global_store_dwordx4 v2, v[0:3], s[0:1] offset:16
	global_store_dword v2, v2, s[8:9]
	s_cbranch_scc1 .LBB14_22
; %bb.19:
	v_mov_b32_e32 v1, 0
	s_mov_b32 s0, 0
.LBB14_20:                              ; =>This Inner Loop Header: Depth=1
	v_mov_b32_e32 v0, s7
	global_atomic_cmpswap v1, v2, v[0:1], s[2:3] offset:4 glc
	s_waitcnt vmcnt(0)
	v_cmp_lt_i32_e32 vcc_lo, s14, v1
	s_or_b32 s0, vcc_lo, s0
	s_andn2_b32 exec_lo, exec_lo, s0
	s_cbranch_execnz .LBB14_20
; %bb.21:
	s_or_b32 exec_lo, exec_lo, s0
.LBB14_22:
	s_andn2_b32 vcc_lo, exec_lo, s5
	s_cbranch_vccnz .LBB14_28
; %bb.23:
	v_cmp_ne_u32_e32 vcc_lo, 1, v8
	s_cbranch_vccnz .LBB14_26
; %bb.24:
	s_mov_b32 s0, 0
	s_mov_b32 s1, 0x7ff80000
	v_mov_b32_e32 v0, s0
	v_mov_b32_e32 v2, 0
	;; [unrolled: 1-line block ×3, first 2 shown]
.LBB14_25:                              ; =>This Inner Loop Header: Depth=1
	s_add_i32 s4, s4, -1
	global_store_dwordx2 v2, v[0:1], s[20:21]
	global_store_dwordx2 v2, v[0:1], s[24:25]
	s_add_u32 s20, s20, 8
	s_addc_u32 s21, s21, 0
	s_add_u32 s24, s24, 8
	s_addc_u32 s25, s25, 0
	s_cmp_eq_u32 s4, 0
	s_cbranch_scc0 .LBB14_25
.LBB14_26:
	v_mov_b32_e32 v0, 0
	v_mov_b32_e32 v1, 0x7ff80000
	s_mov_b32 s0, exec_lo
	s_lshl_b64 s[4:5], s[16:17], 2
	v_mbcnt_lo_u32_b32 v2, s0, 0
	s_add_u32 s8, s22, s4
	global_store_dwordx2 v0, v[0:1], s[18:19] offset:-8
	v_mov_b32_e32 v1, s6
	v_mov_b32_e32 v3, 2
	s_addc_u32 s9, s23, s5
	s_add_u32 s4, s2, s4
	s_addc_u32 s5, s3, s5
	global_store_dword v0, v1, s[8:9]
	global_store_dword v0, v3, s[4:5] offset:8
	s_mov_b32 s1, exec_lo
	v_cmpx_eq_u32_e32 0, v2
	s_cbranch_execz .LBB14_28
; %bb.27:
	s_bcnt1_i32_b32 s0, s0
	v_mov_b32_e32 v1, s0
	global_atomic_add v0, v1, s[2:3]
.LBB14_28:
	s_endpgm
	.section	.rodata,"a",@progbits
	.p2align	6, 0x0
	.amdhsa_kernel _ZN9rocsolver6v33100L10bdsqr_initIddEEviPT0_lS3_lPiiS2_S2_S4_S3_lS4_
		.amdhsa_group_segment_fixed_size 0
		.amdhsa_private_segment_fixed_size 0
		.amdhsa_kernarg_size 104
		.amdhsa_user_sgpr_count 6
		.amdhsa_user_sgpr_private_segment_buffer 1
		.amdhsa_user_sgpr_dispatch_ptr 0
		.amdhsa_user_sgpr_queue_ptr 0
		.amdhsa_user_sgpr_kernarg_segment_ptr 1
		.amdhsa_user_sgpr_dispatch_id 0
		.amdhsa_user_sgpr_flat_scratch_init 0
		.amdhsa_user_sgpr_private_segment_size 0
		.amdhsa_wavefront_size32 1
		.amdhsa_uses_dynamic_stack 0
		.amdhsa_system_sgpr_private_segment_wavefront_offset 0
		.amdhsa_system_sgpr_workgroup_id_x 1
		.amdhsa_system_sgpr_workgroup_id_y 1
		.amdhsa_system_sgpr_workgroup_id_z 0
		.amdhsa_system_sgpr_workgroup_info 0
		.amdhsa_system_vgpr_workitem_id 0
		.amdhsa_next_free_vgpr 14
		.amdhsa_next_free_sgpr 34
		.amdhsa_reserve_vcc 1
		.amdhsa_reserve_flat_scratch 0
		.amdhsa_float_round_mode_32 0
		.amdhsa_float_round_mode_16_64 0
		.amdhsa_float_denorm_mode_32 3
		.amdhsa_float_denorm_mode_16_64 3
		.amdhsa_dx10_clamp 1
		.amdhsa_ieee_mode 1
		.amdhsa_fp16_overflow 0
		.amdhsa_workgroup_processor_mode 1
		.amdhsa_memory_ordered 1
		.amdhsa_forward_progress 1
		.amdhsa_shared_vgpr_count 0
		.amdhsa_exception_fp_ieee_invalid_op 0
		.amdhsa_exception_fp_denorm_src 0
		.amdhsa_exception_fp_ieee_div_zero 0
		.amdhsa_exception_fp_ieee_overflow 0
		.amdhsa_exception_fp_ieee_underflow 0
		.amdhsa_exception_fp_ieee_inexact 0
		.amdhsa_exception_int_div_zero 0
	.end_amdhsa_kernel
	.section	.text._ZN9rocsolver6v33100L10bdsqr_initIddEEviPT0_lS3_lPiiS2_S2_S4_S3_lS4_,"axG",@progbits,_ZN9rocsolver6v33100L10bdsqr_initIddEEviPT0_lS3_lPiiS2_S2_S4_S3_lS4_,comdat
.Lfunc_end14:
	.size	_ZN9rocsolver6v33100L10bdsqr_initIddEEviPT0_lS3_lPiiS2_S2_S4_S3_lS4_, .Lfunc_end14-_ZN9rocsolver6v33100L10bdsqr_initIddEEviPT0_lS3_lPiiS2_S2_S4_S3_lS4_
                                        ; -- End function
	.set _ZN9rocsolver6v33100L10bdsqr_initIddEEviPT0_lS3_lPiiS2_S2_S4_S3_lS4_.num_vgpr, 14
	.set _ZN9rocsolver6v33100L10bdsqr_initIddEEviPT0_lS3_lPiiS2_S2_S4_S3_lS4_.num_agpr, 0
	.set _ZN9rocsolver6v33100L10bdsqr_initIddEEviPT0_lS3_lPiiS2_S2_S4_S3_lS4_.numbered_sgpr, 34
	.set _ZN9rocsolver6v33100L10bdsqr_initIddEEviPT0_lS3_lPiiS2_S2_S4_S3_lS4_.num_named_barrier, 0
	.set _ZN9rocsolver6v33100L10bdsqr_initIddEEviPT0_lS3_lPiiS2_S2_S4_S3_lS4_.private_seg_size, 0
	.set _ZN9rocsolver6v33100L10bdsqr_initIddEEviPT0_lS3_lPiiS2_S2_S4_S3_lS4_.uses_vcc, 1
	.set _ZN9rocsolver6v33100L10bdsqr_initIddEEviPT0_lS3_lPiiS2_S2_S4_S3_lS4_.uses_flat_scratch, 0
	.set _ZN9rocsolver6v33100L10bdsqr_initIddEEviPT0_lS3_lPiiS2_S2_S4_S3_lS4_.has_dyn_sized_stack, 0
	.set _ZN9rocsolver6v33100L10bdsqr_initIddEEviPT0_lS3_lPiiS2_S2_S4_S3_lS4_.has_recursion, 0
	.set _ZN9rocsolver6v33100L10bdsqr_initIddEEviPT0_lS3_lPiiS2_S2_S4_S3_lS4_.has_indirect_call, 0
	.section	.AMDGPU.csdata,"",@progbits
; Kernel info:
; codeLenInByte = 1524
; TotalNumSgprs: 36
; NumVgprs: 14
; ScratchSize: 0
; MemoryBound: 0
; FloatMode: 240
; IeeeMode: 1
; LDSByteSize: 0 bytes/workgroup (compile time only)
; SGPRBlocks: 0
; VGPRBlocks: 1
; NumSGPRsForWavesPerEU: 36
; NumVGPRsForWavesPerEU: 14
; Occupancy: 16
; WaveLimiterHint : 0
; COMPUTE_PGM_RSRC2:SCRATCH_EN: 0
; COMPUTE_PGM_RSRC2:USER_SGPR: 6
; COMPUTE_PGM_RSRC2:TRAP_HANDLER: 0
; COMPUTE_PGM_RSRC2:TGID_X_EN: 1
; COMPUTE_PGM_RSRC2:TGID_Y_EN: 1
; COMPUTE_PGM_RSRC2:TGID_Z_EN: 0
; COMPUTE_PGM_RSRC2:TIDIG_COMP_CNT: 0
	.section	.text._ZN9rocsolver6v33100L11swap_kernelIdiEEvT0_PT_S2_S4_S2_,"axG",@progbits,_ZN9rocsolver6v33100L11swap_kernelIdiEEvT0_PT_S2_S4_S2_,comdat
	.globl	_ZN9rocsolver6v33100L11swap_kernelIdiEEvT0_PT_S2_S4_S2_ ; -- Begin function _ZN9rocsolver6v33100L11swap_kernelIdiEEvT0_PT_S2_S4_S2_
	.p2align	8
	.type	_ZN9rocsolver6v33100L11swap_kernelIdiEEvT0_PT_S2_S4_S2_,@function
_ZN9rocsolver6v33100L11swap_kernelIdiEEvT0_PT_S2_S4_S2_: ; @_ZN9rocsolver6v33100L11swap_kernelIdiEEvT0_PT_S2_S4_S2_
; %bb.0:
	s_load_dword s12, s[4:5], 0x0
	s_waitcnt lgkmcnt(0)
	s_cmp_lt_i32 s12, 1
	s_cbranch_scc1 .LBB15_10
; %bb.1:
	s_clause 0x5
	s_load_dword s0, s[4:5], 0x34
	s_load_dword s1, s[4:5], 0x10
	;; [unrolled: 1-line block ×4, first 2 shown]
	s_load_dwordx2 s[2:3], s[4:5], 0x8
	s_load_dwordx2 s[4:5], s[4:5], 0x18
	s_waitcnt lgkmcnt(0)
	s_and_b32 s0, s0, 0xffff
	s_cmp_eq_u32 s1, 1
	v_mad_u64_u32 v[0:1], null, s6, s0, v[0:1]
	s_cselect_b32 s9, -1, 0
	s_cmp_eq_u32 s8, 1
	s_mul_i32 s6, s7, s0
	s_cselect_b32 s10, -1, 0
	s_and_b32 s7, s9, s10
	v_cmp_gt_i32_e64 s0, s12, v0
	s_and_b32 vcc_lo, exec_lo, s7
	s_mov_b32 s7, -1
	s_cbranch_vccnz .LBB15_6
; %bb.2:
	s_and_saveexec_b32 s7, s0
	s_cbranch_execz .LBB15_5
; %bb.3:
	v_mad_i64_i32 v[1:2], null, s8, v0, 0
	v_mad_i64_i32 v[3:4], null, s1, v0, 0
	v_mov_b32_e32 v5, v0
	s_mul_hi_i32 s9, s8, s6
	s_mul_i32 s8, s8, s6
	s_mul_hi_i32 s11, s1, s6
	v_lshlrev_b64 v[1:2], 3, v[1:2]
	s_mul_i32 s10, s1, s6
	v_lshlrev_b64 v[3:4], 3, v[3:4]
	s_lshl_b64 s[8:9], s[8:9], 3
	s_lshl_b64 s[10:11], s[10:11], 3
	s_mov_b32 s13, 0
	v_add_co_u32 v1, vcc_lo, s4, v1
	v_add_co_ci_u32_e64 v2, null, s5, v2, vcc_lo
	v_add_co_u32 v3, vcc_lo, s2, v3
	v_add_co_ci_u32_e64 v4, null, s3, v4, vcc_lo
	.p2align	6
.LBB15_4:                               ; =>This Inner Loop Header: Depth=1
	global_load_dwordx2 v[6:7], v[3:4], off
	global_load_dwordx2 v[8:9], v[1:2], off
	v_add_nc_u32_e32 v5, s6, v5
	s_waitcnt vmcnt(1)
	global_store_dwordx2 v[1:2], v[6:7], off
	s_waitcnt vmcnt(0)
	global_store_dwordx2 v[3:4], v[8:9], off
	v_add_co_u32 v1, s1, v1, s8
	v_cmp_le_i32_e32 vcc_lo, s12, v5
	v_add_co_ci_u32_e64 v2, null, s9, v2, s1
	v_add_co_u32 v3, s1, v3, s10
	v_add_co_ci_u32_e64 v4, null, s11, v4, s1
	s_or_b32 s13, vcc_lo, s13
	s_andn2_b32 exec_lo, exec_lo, s13
	s_cbranch_execnz .LBB15_4
.LBB15_5:
	s_or_b32 exec_lo, exec_lo, s7
	s_mov_b32 s7, 0
.LBB15_6:
	s_andn2_b32 vcc_lo, exec_lo, s7
	s_cbranch_vccnz .LBB15_10
; %bb.7:
	s_and_saveexec_b32 s1, s0
	s_cbranch_execz .LBB15_10
; %bb.8:
	v_ashrrev_i32_e32 v1, 31, v0
	s_ashr_i32 s7, s6, 31
	s_mov_b32 s1, 0
	s_lshl_b64 s[8:9], s[6:7], 3
	v_lshlrev_b64 v[1:2], 3, v[0:1]
	.p2align	6
.LBB15_9:                               ; =>This Inner Loop Header: Depth=1
	v_add_co_u32 v3, vcc_lo, s2, v1
	v_add_co_ci_u32_e64 v4, null, s3, v2, vcc_lo
	v_add_co_u32 v5, vcc_lo, s4, v1
	v_add_co_ci_u32_e64 v6, null, s5, v2, vcc_lo
	global_load_dwordx2 v[7:8], v[3:4], off
	global_load_dwordx2 v[9:10], v[5:6], off
	v_add_nc_u32_e32 v0, s6, v0
	v_add_co_u32 v1, s0, v1, s8
	v_add_co_ci_u32_e64 v2, null, s9, v2, s0
	v_cmp_le_i32_e32 vcc_lo, s12, v0
	s_waitcnt vmcnt(1)
	global_store_dwordx2 v[5:6], v[7:8], off
	s_waitcnt vmcnt(0)
	global_store_dwordx2 v[3:4], v[9:10], off
	s_or_b32 s1, vcc_lo, s1
	s_andn2_b32 exec_lo, exec_lo, s1
	s_cbranch_execnz .LBB15_9
.LBB15_10:
	s_endpgm
	.section	.rodata,"a",@progbits
	.p2align	6, 0x0
	.amdhsa_kernel _ZN9rocsolver6v33100L11swap_kernelIdiEEvT0_PT_S2_S4_S2_
		.amdhsa_group_segment_fixed_size 0
		.amdhsa_private_segment_fixed_size 0
		.amdhsa_kernarg_size 296
		.amdhsa_user_sgpr_count 6
		.amdhsa_user_sgpr_private_segment_buffer 1
		.amdhsa_user_sgpr_dispatch_ptr 0
		.amdhsa_user_sgpr_queue_ptr 0
		.amdhsa_user_sgpr_kernarg_segment_ptr 1
		.amdhsa_user_sgpr_dispatch_id 0
		.amdhsa_user_sgpr_flat_scratch_init 0
		.amdhsa_user_sgpr_private_segment_size 0
		.amdhsa_wavefront_size32 1
		.amdhsa_uses_dynamic_stack 0
		.amdhsa_system_sgpr_private_segment_wavefront_offset 0
		.amdhsa_system_sgpr_workgroup_id_x 1
		.amdhsa_system_sgpr_workgroup_id_y 0
		.amdhsa_system_sgpr_workgroup_id_z 0
		.amdhsa_system_sgpr_workgroup_info 0
		.amdhsa_system_vgpr_workitem_id 0
		.amdhsa_next_free_vgpr 11
		.amdhsa_next_free_sgpr 14
		.amdhsa_reserve_vcc 1
		.amdhsa_reserve_flat_scratch 0
		.amdhsa_float_round_mode_32 0
		.amdhsa_float_round_mode_16_64 0
		.amdhsa_float_denorm_mode_32 3
		.amdhsa_float_denorm_mode_16_64 3
		.amdhsa_dx10_clamp 1
		.amdhsa_ieee_mode 1
		.amdhsa_fp16_overflow 0
		.amdhsa_workgroup_processor_mode 1
		.amdhsa_memory_ordered 1
		.amdhsa_forward_progress 1
		.amdhsa_shared_vgpr_count 0
		.amdhsa_exception_fp_ieee_invalid_op 0
		.amdhsa_exception_fp_denorm_src 0
		.amdhsa_exception_fp_ieee_div_zero 0
		.amdhsa_exception_fp_ieee_overflow 0
		.amdhsa_exception_fp_ieee_underflow 0
		.amdhsa_exception_fp_ieee_inexact 0
		.amdhsa_exception_int_div_zero 0
	.end_amdhsa_kernel
	.section	.text._ZN9rocsolver6v33100L11swap_kernelIdiEEvT0_PT_S2_S4_S2_,"axG",@progbits,_ZN9rocsolver6v33100L11swap_kernelIdiEEvT0_PT_S2_S4_S2_,comdat
.Lfunc_end15:
	.size	_ZN9rocsolver6v33100L11swap_kernelIdiEEvT0_PT_S2_S4_S2_, .Lfunc_end15-_ZN9rocsolver6v33100L11swap_kernelIdiEEvT0_PT_S2_S4_S2_
                                        ; -- End function
	.set _ZN9rocsolver6v33100L11swap_kernelIdiEEvT0_PT_S2_S4_S2_.num_vgpr, 11
	.set _ZN9rocsolver6v33100L11swap_kernelIdiEEvT0_PT_S2_S4_S2_.num_agpr, 0
	.set _ZN9rocsolver6v33100L11swap_kernelIdiEEvT0_PT_S2_S4_S2_.numbered_sgpr, 14
	.set _ZN9rocsolver6v33100L11swap_kernelIdiEEvT0_PT_S2_S4_S2_.num_named_barrier, 0
	.set _ZN9rocsolver6v33100L11swap_kernelIdiEEvT0_PT_S2_S4_S2_.private_seg_size, 0
	.set _ZN9rocsolver6v33100L11swap_kernelIdiEEvT0_PT_S2_S4_S2_.uses_vcc, 1
	.set _ZN9rocsolver6v33100L11swap_kernelIdiEEvT0_PT_S2_S4_S2_.uses_flat_scratch, 0
	.set _ZN9rocsolver6v33100L11swap_kernelIdiEEvT0_PT_S2_S4_S2_.has_dyn_sized_stack, 0
	.set _ZN9rocsolver6v33100L11swap_kernelIdiEEvT0_PT_S2_S4_S2_.has_recursion, 0
	.set _ZN9rocsolver6v33100L11swap_kernelIdiEEvT0_PT_S2_S4_S2_.has_indirect_call, 0
	.section	.AMDGPU.csdata,"",@progbits
; Kernel info:
; codeLenInByte = 560
; TotalNumSgprs: 16
; NumVgprs: 11
; ScratchSize: 0
; MemoryBound: 0
; FloatMode: 240
; IeeeMode: 1
; LDSByteSize: 0 bytes/workgroup (compile time only)
; SGPRBlocks: 0
; VGPRBlocks: 1
; NumSGPRsForWavesPerEU: 16
; NumVGPRsForWavesPerEU: 11
; Occupancy: 16
; WaveLimiterHint : 0
; COMPUTE_PGM_RSRC2:SCRATCH_EN: 0
; COMPUTE_PGM_RSRC2:USER_SGPR: 6
; COMPUTE_PGM_RSRC2:TRAP_HANDLER: 0
; COMPUTE_PGM_RSRC2:TGID_X_EN: 1
; COMPUTE_PGM_RSRC2:TGID_Y_EN: 0
; COMPUTE_PGM_RSRC2:TGID_Z_EN: 0
; COMPUTE_PGM_RSRC2:TIDIG_COMP_CNT: 0
	.section	.text._ZN9rocsolver6v33100L10rot_kernelIddiEEvT1_PT0_S2_S4_S2_T_S5_,"axG",@progbits,_ZN9rocsolver6v33100L10rot_kernelIddiEEvT1_PT0_S2_S4_S2_T_S5_,comdat
	.globl	_ZN9rocsolver6v33100L10rot_kernelIddiEEvT1_PT0_S2_S4_S2_T_S5_ ; -- Begin function _ZN9rocsolver6v33100L10rot_kernelIddiEEvT1_PT0_S2_S4_S2_T_S5_
	.p2align	8
	.type	_ZN9rocsolver6v33100L10rot_kernelIddiEEvT1_PT0_S2_S4_S2_T_S5_,@function
_ZN9rocsolver6v33100L10rot_kernelIddiEEvT1_PT0_S2_S4_S2_T_S5_: ; @_ZN9rocsolver6v33100L10rot_kernelIddiEEvT1_PT0_S2_S4_S2_T_S5_
; %bb.0:
	s_load_dword s16, s[4:5], 0x0
	s_waitcnt lgkmcnt(0)
	s_cmp_lt_i32 s16, 1
	s_cbranch_scc1 .LBB16_10
; %bb.1:
	s_clause 0x6
	s_load_dword s0, s[4:5], 0x44
	s_load_dword s1, s[4:5], 0x10
	;; [unrolled: 1-line block ×4, first 2 shown]
	s_load_dwordx4 s[8:11], s[4:5], 0x28
	s_load_dwordx2 s[2:3], s[4:5], 0x8
	s_load_dwordx2 s[4:5], s[4:5], 0x18
	s_waitcnt lgkmcnt(0)
	s_and_b32 s0, s0, 0xffff
	s_cmp_eq_u32 s1, 1
	v_mad_u64_u32 v[0:1], null, s6, s0, v[0:1]
	s_cselect_b32 s13, -1, 0
	s_cmp_eq_u32 s12, 1
	s_mul_i32 s6, s7, s0
	s_cselect_b32 s14, -1, 0
	s_and_b32 s7, s13, s14
	v_cmp_gt_i32_e64 s0, s16, v0
	s_and_b32 vcc_lo, exec_lo, s7
	s_mov_b32 s7, -1
	s_cbranch_vccnz .LBB16_6
; %bb.2:
	s_and_saveexec_b32 s7, s0
	s_cbranch_execz .LBB16_5
; %bb.3:
	v_mad_i64_i32 v[1:2], null, s12, v0, 0
	v_mad_i64_i32 v[3:4], null, s1, v0, 0
	v_mov_b32_e32 v5, v0
	s_mul_hi_i32 s13, s12, s6
	s_mul_i32 s12, s12, s6
	s_mul_hi_i32 s15, s1, s6
	v_lshlrev_b64 v[1:2], 3, v[1:2]
	s_mul_i32 s14, s1, s6
	v_lshlrev_b64 v[3:4], 3, v[3:4]
	s_lshl_b64 s[12:13], s[12:13], 3
	s_lshl_b64 s[14:15], s[14:15], 3
	s_mov_b32 s17, 0
	v_add_co_u32 v1, vcc_lo, s4, v1
	v_add_co_ci_u32_e64 v2, null, s5, v2, vcc_lo
	v_add_co_u32 v3, vcc_lo, s2, v3
	v_add_co_ci_u32_e64 v4, null, s3, v4, vcc_lo
	.p2align	6
.LBB16_4:                               ; =>This Inner Loop Header: Depth=1
	global_load_dwordx2 v[6:7], v[3:4], off
	global_load_dwordx2 v[8:9], v[1:2], off
	v_add_nc_u32_e32 v5, s6, v5
	v_cmp_le_i32_e32 vcc_lo, s16, v5
	s_or_b32 s17, vcc_lo, s17
	s_waitcnt vmcnt(1)
	v_mul_f64 v[10:11], s[10:11], v[6:7]
	s_waitcnt vmcnt(0)
	v_mul_f64 v[12:13], s[10:11], v[8:9]
	v_fma_f64 v[8:9], s[8:9], v[8:9], -v[10:11]
	v_fma_f64 v[6:7], s[8:9], v[6:7], v[12:13]
	global_store_dwordx2 v[1:2], v[8:9], off
	global_store_dwordx2 v[3:4], v[6:7], off
	v_add_co_u32 v1, s1, v1, s12
	v_add_co_ci_u32_e64 v2, null, s13, v2, s1
	v_add_co_u32 v3, s1, v3, s14
	v_add_co_ci_u32_e64 v4, null, s15, v4, s1
	s_andn2_b32 exec_lo, exec_lo, s17
	s_cbranch_execnz .LBB16_4
.LBB16_5:
	s_or_b32 exec_lo, exec_lo, s7
	s_mov_b32 s7, 0
.LBB16_6:
	s_andn2_b32 vcc_lo, exec_lo, s7
	s_cbranch_vccnz .LBB16_10
; %bb.7:
	s_and_saveexec_b32 s1, s0
	s_cbranch_execz .LBB16_10
; %bb.8:
	v_ashrrev_i32_e32 v1, 31, v0
	s_ashr_i32 s7, s6, 31
	s_mov_b32 s1, 0
	s_lshl_b64 s[12:13], s[6:7], 3
	v_lshlrev_b64 v[1:2], 3, v[0:1]
	s_inst_prefetch 0x1
	.p2align	6
.LBB16_9:                               ; =>This Inner Loop Header: Depth=1
	v_add_co_u32 v3, vcc_lo, s2, v1
	v_add_co_ci_u32_e64 v4, null, s3, v2, vcc_lo
	v_add_co_u32 v5, vcc_lo, s4, v1
	v_add_co_ci_u32_e64 v6, null, s5, v2, vcc_lo
	global_load_dwordx2 v[7:8], v[3:4], off
	global_load_dwordx2 v[9:10], v[5:6], off
	v_add_nc_u32_e32 v0, s6, v0
	v_add_co_u32 v1, s0, v1, s12
	v_add_co_ci_u32_e64 v2, null, s13, v2, s0
	v_cmp_le_i32_e32 vcc_lo, s16, v0
	s_or_b32 s1, vcc_lo, s1
	s_waitcnt vmcnt(1)
	v_mul_f64 v[11:12], s[10:11], v[7:8]
	s_waitcnt vmcnt(0)
	v_mul_f64 v[13:14], s[10:11], v[9:10]
	v_fma_f64 v[9:10], s[8:9], v[9:10], -v[11:12]
	v_fma_f64 v[7:8], s[8:9], v[7:8], v[13:14]
	global_store_dwordx2 v[5:6], v[9:10], off
	global_store_dwordx2 v[3:4], v[7:8], off
	s_andn2_b32 exec_lo, exec_lo, s1
	s_cbranch_execnz .LBB16_9
.LBB16_10:
	s_inst_prefetch 0x2
	s_endpgm
	.section	.rodata,"a",@progbits
	.p2align	6, 0x0
	.amdhsa_kernel _ZN9rocsolver6v33100L10rot_kernelIddiEEvT1_PT0_S2_S4_S2_T_S5_
		.amdhsa_group_segment_fixed_size 0
		.amdhsa_private_segment_fixed_size 0
		.amdhsa_kernarg_size 312
		.amdhsa_user_sgpr_count 6
		.amdhsa_user_sgpr_private_segment_buffer 1
		.amdhsa_user_sgpr_dispatch_ptr 0
		.amdhsa_user_sgpr_queue_ptr 0
		.amdhsa_user_sgpr_kernarg_segment_ptr 1
		.amdhsa_user_sgpr_dispatch_id 0
		.amdhsa_user_sgpr_flat_scratch_init 0
		.amdhsa_user_sgpr_private_segment_size 0
		.amdhsa_wavefront_size32 1
		.amdhsa_uses_dynamic_stack 0
		.amdhsa_system_sgpr_private_segment_wavefront_offset 0
		.amdhsa_system_sgpr_workgroup_id_x 1
		.amdhsa_system_sgpr_workgroup_id_y 0
		.amdhsa_system_sgpr_workgroup_id_z 0
		.amdhsa_system_sgpr_workgroup_info 0
		.amdhsa_system_vgpr_workitem_id 0
		.amdhsa_next_free_vgpr 15
		.amdhsa_next_free_sgpr 18
		.amdhsa_reserve_vcc 1
		.amdhsa_reserve_flat_scratch 0
		.amdhsa_float_round_mode_32 0
		.amdhsa_float_round_mode_16_64 0
		.amdhsa_float_denorm_mode_32 3
		.amdhsa_float_denorm_mode_16_64 3
		.amdhsa_dx10_clamp 1
		.amdhsa_ieee_mode 1
		.amdhsa_fp16_overflow 0
		.amdhsa_workgroup_processor_mode 1
		.amdhsa_memory_ordered 1
		.amdhsa_forward_progress 1
		.amdhsa_shared_vgpr_count 0
		.amdhsa_exception_fp_ieee_invalid_op 0
		.amdhsa_exception_fp_denorm_src 0
		.amdhsa_exception_fp_ieee_div_zero 0
		.amdhsa_exception_fp_ieee_overflow 0
		.amdhsa_exception_fp_ieee_underflow 0
		.amdhsa_exception_fp_ieee_inexact 0
		.amdhsa_exception_int_div_zero 0
	.end_amdhsa_kernel
	.section	.text._ZN9rocsolver6v33100L10rot_kernelIddiEEvT1_PT0_S2_S4_S2_T_S5_,"axG",@progbits,_ZN9rocsolver6v33100L10rot_kernelIddiEEvT1_PT0_S2_S4_S2_T_S5_,comdat
.Lfunc_end16:
	.size	_ZN9rocsolver6v33100L10rot_kernelIddiEEvT1_PT0_S2_S4_S2_T_S5_, .Lfunc_end16-_ZN9rocsolver6v33100L10rot_kernelIddiEEvT1_PT0_S2_S4_S2_T_S5_
                                        ; -- End function
	.set _ZN9rocsolver6v33100L10rot_kernelIddiEEvT1_PT0_S2_S4_S2_T_S5_.num_vgpr, 15
	.set _ZN9rocsolver6v33100L10rot_kernelIddiEEvT1_PT0_S2_S4_S2_T_S5_.num_agpr, 0
	.set _ZN9rocsolver6v33100L10rot_kernelIddiEEvT1_PT0_S2_S4_S2_T_S5_.numbered_sgpr, 18
	.set _ZN9rocsolver6v33100L10rot_kernelIddiEEvT1_PT0_S2_S4_S2_T_S5_.num_named_barrier, 0
	.set _ZN9rocsolver6v33100L10rot_kernelIddiEEvT1_PT0_S2_S4_S2_T_S5_.private_seg_size, 0
	.set _ZN9rocsolver6v33100L10rot_kernelIddiEEvT1_PT0_S2_S4_S2_T_S5_.uses_vcc, 1
	.set _ZN9rocsolver6v33100L10rot_kernelIddiEEvT1_PT0_S2_S4_S2_T_S5_.uses_flat_scratch, 0
	.set _ZN9rocsolver6v33100L10rot_kernelIddiEEvT1_PT0_S2_S4_S2_T_S5_.has_dyn_sized_stack, 0
	.set _ZN9rocsolver6v33100L10rot_kernelIddiEEvT1_PT0_S2_S4_S2_T_S5_.has_recursion, 0
	.set _ZN9rocsolver6v33100L10rot_kernelIddiEEvT1_PT0_S2_S4_S2_T_S5_.has_indirect_call, 0
	.section	.AMDGPU.csdata,"",@progbits
; Kernel info:
; codeLenInByte = 596
; TotalNumSgprs: 20
; NumVgprs: 15
; ScratchSize: 0
; MemoryBound: 0
; FloatMode: 240
; IeeeMode: 1
; LDSByteSize: 0 bytes/workgroup (compile time only)
; SGPRBlocks: 0
; VGPRBlocks: 1
; NumSGPRsForWavesPerEU: 20
; NumVGPRsForWavesPerEU: 15
; Occupancy: 16
; WaveLimiterHint : 0
; COMPUTE_PGM_RSRC2:SCRATCH_EN: 0
; COMPUTE_PGM_RSRC2:USER_SGPR: 6
; COMPUTE_PGM_RSRC2:TRAP_HANDLER: 0
; COMPUTE_PGM_RSRC2:TGID_X_EN: 1
; COMPUTE_PGM_RSRC2:TGID_Y_EN: 0
; COMPUTE_PGM_RSRC2:TGID_Z_EN: 0
; COMPUTE_PGM_RSRC2:TIDIG_COMP_CNT: 0
	.section	.text._ZN9rocsolver6v33100L11lasr_kernelIddPdiEEv13rocblas_side_14rocblas_pivot_15rocblas_direct_T2_S6_PT0_lS8_lT1_lS6_lS6_,"axG",@progbits,_ZN9rocsolver6v33100L11lasr_kernelIddPdiEEv13rocblas_side_14rocblas_pivot_15rocblas_direct_T2_S6_PT0_lS8_lT1_lS6_lS6_,comdat
	.globl	_ZN9rocsolver6v33100L11lasr_kernelIddPdiEEv13rocblas_side_14rocblas_pivot_15rocblas_direct_T2_S6_PT0_lS8_lT1_lS6_lS6_ ; -- Begin function _ZN9rocsolver6v33100L11lasr_kernelIddPdiEEv13rocblas_side_14rocblas_pivot_15rocblas_direct_T2_S6_PT0_lS8_lT1_lS6_lS6_
	.p2align	8
	.type	_ZN9rocsolver6v33100L11lasr_kernelIddPdiEEv13rocblas_side_14rocblas_pivot_15rocblas_direct_T2_S6_PT0_lS8_lT1_lS6_lS6_,@function
_ZN9rocsolver6v33100L11lasr_kernelIddPdiEEv13rocblas_side_14rocblas_pivot_15rocblas_direct_T2_S6_PT0_lS8_lT1_lS6_lS6_: ; @_ZN9rocsolver6v33100L11lasr_kernelIddPdiEEv13rocblas_side_14rocblas_pivot_15rocblas_direct_T2_S6_PT0_lS8_lT1_lS6_lS6_
; %bb.0:
	s_load_dword s33, s[4:5], 0x58
	s_waitcnt lgkmcnt(0)
	s_cmp_ge_u32 s7, s33
	s_cbranch_scc1 .LBB17_108
; %bb.1:
	s_clause 0x6
	s_load_dword s20, s[4:5], 0x48
	s_load_dwordx4 s[16:19], s[4:5], 0x38
	s_load_dwordx2 s[22:23], s[4:5], 0x68
	s_load_dwordx4 s[0:3], s[4:5], 0x0
	s_load_dword s24, s[4:5], 0x60
	s_load_dword s56, s[4:5], 0x10
	s_load_dwordx8 s[8:15], s[4:5], 0x18
	v_mov_b32_e32 v36, 0
	s_waitcnt lgkmcnt(0)
	s_ashr_i32 s21, s20, 31
	s_lshl_b64 s[38:39], s[18:19], 3
	s_and_b32 s25, s23, 0xffff
	s_add_u32 s23, s16, s38
	s_addc_u32 s57, s17, s39
	s_cmpk_eq_i32 s0, 0x8d
	s_load_dwordx2 s[18:19], s[4:5], 0x50
	s_cselect_b32 s26, -1, 0
	s_cmpk_eq_i32 s0, 0x8e
	v_mad_u64_u32 v[0:1], null, s6, s25, v[0:1]
	s_cselect_b32 s27, -1, 0
	s_cmpk_eq_i32 s1, 0x119
	s_mul_i32 s4, s24, s25
	s_cselect_b32 s0, -1, 0
	s_cmpk_eq_i32 s1, 0x11b
	s_cselect_b32 s28, -1, 0
	s_cmpk_eq_i32 s1, 0x11a
	v_ashrrev_i32_e32 v1, 31, v0
	s_cselect_b32 s1, -1, 0
	s_cmpk_eq_i32 s2, 0xab
	v_mad_i64_i32 v[3:4], null, s20, v0, 0
	s_cselect_b32 s5, -1, 0
	s_cmpk_eq_i32 s2, 0xac
	v_lshlrev_b64 v[1:2], 3, v[0:1]
	s_cselect_b32 s2, -1, 0
	s_and_b32 s24, s26, s1
	s_and_b32 s6, s26, s0
	;; [unrolled: 1-line block ×7, first 2 shown]
	s_xor_b32 s60, s24, -1
	s_and_b32 s24, s25, s2
	s_and_b32 s25, s0, s5
	s_and_b32 s0, s0, s2
	s_and_b32 s1, s27, s1
	s_xor_b32 s64, s0, -1
	v_cmp_gt_i32_e64 s0, s3, v0
	s_xor_b32 s62, s24, -1
	s_and_b32 s24, s1, s5
	s_and_b32 s1, s1, s2
	s_xor_b32 s65, s24, -1
	s_and_b32 s24, s27, s28
	s_and_b32 s26, s6, s5
	;; [unrolled: 1-line block ×3, first 2 shown]
	s_xor_b32 s66, s1, -1
	s_and_b32 s1, s24, s5
	s_and_b32 s2, s2, s0
	s_xor_b32 s6, s26, -1
	s_xor_b32 s58, s29, -1
	;; [unrolled: 1-line block ×6, first 2 shown]
	s_and_b32 s68, s24, s2
	s_add_i32 s69, s56, -1
	s_add_i32 s24, s56, -2
	s_cmp_gt_i32 s56, 1
	s_mov_b32 s25, 0
	s_cselect_b32 s70, -1, 0
	s_ashr_i32 s29, s3, 31
	s_add_i32 s40, s3, -2
	s_cmp_gt_i32 s3, 1
	s_mul_i32 s2, s21, s24
	s_cselect_b32 s71, -1, 0
	s_lshl_b64 s[30:31], s[24:25], 3
	s_mul_hi_u32 s5, s20, s24
	s_add_u32 s72, s8, s30
	s_addc_u32 s73, s9, s31
	s_lshl_b64 s[10:11], s[10:11], 3
	s_add_u32 s74, s12, s30
	s_addc_u32 s75, s13, s31
	s_add_i32 s31, s5, s2
	s_mul_i32 s30, s20, s24
	s_lshl_b64 s[14:15], s[14:15], 3
	s_lshl_b64 s[30:31], s[30:31], 3
	s_mul_i32 s26, s20, s69
	s_add_u32 s2, s30, s38
	s_addc_u32 s5, s31, s39
	s_add_u32 s2, s16, s2
	s_addc_u32 s5, s17, s5
	v_add_co_u32 v18, vcc_lo, s2, v1
	v_add_co_ci_u32_e64 v19, null, s5, v2, vcc_lo
	s_ashr_i32 s5, s4, 31
	s_lshl_b64 s[34:35], s[20:21], 3
	s_waitcnt lgkmcnt(0)
	s_lshl_b64 s[30:31], s[18:19], 3
	s_lshl_b64 s[36:37], s[4:5], 3
	s_mul_i32 s2, s21, s69
	s_mul_hi_u32 s24, s20, s69
	s_sub_u32 s5, 0, s34
	s_subb_u32 s21, 0, s35
	s_add_i32 s43, s24, s2
	s_mov_b32 s42, s26
	s_add_i32 s76, s56, 1
	s_lshl_b64 s[42:43], s[42:43], 3
	v_add_co_u32 v20, vcc_lo, s23, v1
	s_add_u32 s2, s42, s38
	s_addc_u32 s24, s43, s39
	s_add_u32 s2, s16, s2
	v_add_co_ci_u32_e64 v21, null, s57, v2, vcc_lo
	s_addc_u32 s24, s17, s24
	v_add_co_u32 v22, vcc_lo, s2, v1
	s_add_u32 s2, s38, s34
	v_add_co_ci_u32_e64 v23, null, s24, v2, vcc_lo
	s_addc_u32 s24, s39, s35
	s_add_u32 s2, s16, s2
	s_addc_u32 s24, s17, s24
	v_add_co_u32 v24, vcc_lo, s2, v1
	v_add_co_ci_u32_e64 v25, null, s24, v2, vcc_lo
	v_lshlrev_b64 v[1:2], 3, v[3:4]
	s_mov_b32 s41, s25
	s_add_i32 s24, s3, -1
	s_lshl_b64 s[40:41], s[40:41], 3
	v_cmp_gt_i32_e64 s1, s56, v0
	s_add_u32 s77, s8, s40
	s_addc_u32 s78, s9, s41
	v_add_co_u32 v1, vcc_lo, v1, s38
	s_add_u32 s79, s12, s40
	s_addc_u32 s80, s13, s41
	v_add_co_ci_u32_e64 v2, null, s39, v2, vcc_lo
	s_add_u32 s2, s16, s40
	s_addc_u32 s27, s17, s41
	s_mul_hi_i32 s39, s20, s4
	s_mul_i32 s38, s20, s4
	v_add_co_u32 v26, vcc_lo, s2, v1
	s_lshl_b64 s[40:41], s[24:25], 3
	v_add_co_ci_u32_e64 v27, null, s27, v2, vcc_lo
	s_lshl_b64 s[38:39], s[38:39], 3
	v_add_co_u32 v28, vcc_lo, s16, v1
	s_add_i32 s25, s3, 1
	s_add_u32 s2, s16, s40
	v_add_co_ci_u32_e64 v29, null, s17, v2, vcc_lo
	s_addc_u32 s16, s17, s41
	v_add_co_u32 v30, vcc_lo, s2, v1
	v_add_co_ci_u32_e64 v31, null, s16, v2, vcc_lo
	v_add_co_u32 v32, vcc_lo, v28, 8
	v_add_co_ci_u32_e64 v33, null, 0, v29, vcc_lo
	;; [unrolled: 2-line block ×3, first 2 shown]
	s_mul_hi_i32 s27, s20, s69
	s_mov_b32 s28, s3
	s_branch .LBB17_4
.LBB17_2:                               ;   in Loop: Header=BB17_4 Depth=1
	s_or_b32 exec_lo, exec_lo, s46
.LBB17_3:                               ;   in Loop: Header=BB17_4 Depth=1
	s_add_i32 s7, s7, s22
	s_cmp_ge_u32 s7, s33
	s_cbranch_scc1 .LBB17_108
.LBB17_4:                               ; =>This Loop Header: Depth=1
                                        ;     Child Loop BB17_19 Depth 2
                                        ;       Child Loop BB17_20 Depth 3
                                        ;     Child Loop BB17_26 Depth 2
                                        ;       Child Loop BB17_27 Depth 3
	;; [unrolled: 2-line block ×12, first 2 shown]
	s_mul_i32 s2, s31, s7
	s_mul_hi_u32 s16, s30, s7
	s_mul_hi_u32 s17, s10, s7
	s_add_i32 s83, s16, s2
	s_mul_i32 s16, s11, s7
	s_mul_i32 s2, s10, s7
	s_add_i32 s47, s17, s16
	s_mul_i32 s40, s15, s7
	s_mul_hi_u32 s41, s14, s7
	s_add_u32 s16, s8, s2
	s_mul_i32 s48, s14, s7
	s_addc_u32 s17, s9, s47
	s_add_i32 s49, s41, s40
	s_mul_i32 s42, s19, s7
	s_mul_hi_u32 s43, s18, s7
	s_mul_i32 s84, s30, s7
	s_add_u32 s40, s12, s48
	s_addc_u32 s41, s13, s49
	s_add_i32 s43, s43, s42
	s_mul_i32 s42, s18, s7
	v_add_co_u32 v1, vcc_lo, v32, s84
	s_lshl_b64 s[42:43], s[42:43], 3
	v_add_co_ci_u32_e64 v2, null, s83, v33, vcc_lo
	s_add_u32 s81, s23, s42
	s_addc_u32 s82, s57, s43
	s_and_b32 vcc_lo, exec_lo, s6
	s_mov_b32 s42, -1
	s_cbranch_vccnz .LBB17_6
; %bb.5:                                ;   in Loop: Header=BB17_4 Depth=1
	s_andn2_b32 vcc_lo, exec_lo, s42
	s_cbranch_vccnz .LBB17_3
	s_branch .LBB17_103
.LBB17_6:                               ;   in Loop: Header=BB17_4 Depth=1
	s_add_u32 s42, s77, s2
	s_addc_u32 s43, s78, s47
	s_add_u32 s44, s79, s48
	s_addc_u32 s45, s80, s49
	s_and_b32 vcc_lo, exec_lo, s58
	s_mov_b32 s46, -1
	s_cbranch_vccz .LBB17_95
; %bb.7:                                ;   in Loop: Header=BB17_4 Depth=1
	s_and_b32 vcc_lo, exec_lo, s59
	s_cbranch_vccz .LBB17_87
; %bb.8:                                ;   in Loop: Header=BB17_4 Depth=1
	s_and_b32 vcc_lo, exec_lo, s60
	;; [unrolled: 3-line block ×3, first 2 shown]
	s_cbranch_vccz .LBB17_71
; %bb.10:                               ;   in Loop: Header=BB17_4 Depth=1
	s_and_b32 vcc_lo, exec_lo, s62
	s_cbranch_vccz .LBB17_63
; %bb.11:                               ;   in Loop: Header=BB17_4 Depth=1
	v_add_co_u32 v3, vcc_lo, v20, s84
	v_add_co_ci_u32_e64 v4, null, s83, v21, vcc_lo
	s_and_b32 vcc_lo, exec_lo, s63
	s_cbranch_vccz .LBB17_55
; %bb.12:                               ;   in Loop: Header=BB17_4 Depth=1
	v_add_co_u32 v5, vcc_lo, v22, s84
	v_add_co_ci_u32_e64 v6, null, s83, v23, vcc_lo
	v_add_co_u32 v7, vcc_lo, v18, s84
	s_add_u32 s46, s72, s2
	v_add_co_ci_u32_e64 v8, null, s83, v19, vcc_lo
	s_addc_u32 s47, s73, s47
	s_add_u32 s48, s74, s48
	s_addc_u32 s49, s75, s49
	s_and_b32 vcc_lo, exec_lo, s64
	s_mov_b32 s2, -1
	s_cbranch_vccz .LBB17_46
; %bb.13:                               ;   in Loop: Header=BB17_4 Depth=1
	s_and_b32 vcc_lo, exec_lo, s65
	s_cbranch_vccz .LBB17_38
; %bb.14:                               ;   in Loop: Header=BB17_4 Depth=1
	s_and_b32 vcc_lo, exec_lo, s66
	;; [unrolled: 3-line block ×3, first 2 shown]
	s_cbranch_vccz .LBB17_22
; %bb.16:                               ;   in Loop: Header=BB17_4 Depth=1
	s_and_saveexec_b32 s54, s68
	s_cbranch_execz .LBB17_21
; %bb.17:                               ;   in Loop: Header=BB17_4 Depth=1
	v_mov_b32_e32 v10, v8
	s_lshl_b64 s[50:51], s[26:27], 3
	v_mov_b32_e32 v9, v7
	v_mov_b32_e32 v11, v0
	s_add_u32 s55, s81, s50
	s_addc_u32 s85, s82, s51
	s_mov_b32 s86, 0
	s_branch .LBB17_19
.LBB17_18:                              ;   in Loop: Header=BB17_19 Depth=2
	v_add_nc_u32_e32 v11, s4, v11
	v_add_co_u32 v9, s2, v9, s36
	v_add_co_ci_u32_e64 v10, null, s37, v10, s2
	v_cmp_le_i32_e32 vcc_lo, s3, v11
	s_waitcnt vmcnt(0)
	global_store_dwordx2 v[12:13], v[14:15], off
	s_or_b32 s86, vcc_lo, s86
	s_andn2_b32 exec_lo, exec_lo, s86
	s_cbranch_execz .LBB17_21
.LBB17_19:                              ;   Parent Loop BB17_4 Depth=1
                                        ; =>  This Loop Header: Depth=2
                                        ;       Child Loop BB17_20 Depth 3
	v_ashrrev_i32_e32 v12, 31, v11
	v_mov_b32_e32 v17, v10
	v_mov_b32_e32 v16, v9
	s_mov_b64 s[50:51], s[48:49]
	s_mov_b64 s[52:53], s[46:47]
	v_lshlrev_b64 v[12:13], 3, v[11:12]
	s_mov_b32 s2, s69
	v_add_co_u32 v12, vcc_lo, s55, v12
	v_add_co_ci_u32_e64 v13, null, s85, v13, vcc_lo
	s_andn2_b32 vcc_lo, exec_lo, s70
	global_load_dwordx2 v[14:15], v[12:13], off
	s_cbranch_vccnz .LBB17_18
	.p2align	6
.LBB17_20:                              ;   Parent Loop BB17_4 Depth=1
                                        ;     Parent Loop BB17_19 Depth=2
                                        ; =>    This Inner Loop Header: Depth=3
	global_load_dwordx2 v[37:38], v[16:17], off
	s_clause 0x1
	global_load_dwordx2 v[39:40], v36, s[52:53]
	global_load_dwordx2 v[41:42], v36, s[50:51]
	s_add_i32 s2, s2, -1
	s_add_u32 s52, s52, -8
	s_addc_u32 s53, s53, -1
	s_add_u32 s50, s50, -8
	s_addc_u32 s51, s51, -1
	s_cmp_eq_u32 s2, 0
	s_waitcnt vmcnt(1)
	v_mul_f64 v[43:44], v[39:40], v[37:38]
	s_waitcnt vmcnt(0)
	v_mul_f64 v[37:38], v[41:42], v[37:38]
	v_fma_f64 v[41:42], v[14:15], v[41:42], v[43:44]
	v_fma_f64 v[14:15], v[14:15], v[39:40], -v[37:38]
	global_store_dwordx2 v[16:17], v[41:42], off
	v_add_co_u32 v16, vcc_lo, v16, s5
	v_add_co_ci_u32_e64 v17, null, s21, v17, vcc_lo
	s_cbranch_scc0 .LBB17_20
	s_branch .LBB17_18
.LBB17_21:                              ;   in Loop: Header=BB17_4 Depth=1
	s_or_b32 exec_lo, exec_lo, s54
	s_mov_b32 s2, 0
.LBB17_22:                              ;   in Loop: Header=BB17_4 Depth=1
	s_andn2_b32 vcc_lo, exec_lo, s2
	s_cbranch_vccnz .LBB17_29
; %bb.23:                               ;   in Loop: Header=BB17_4 Depth=1
	s_and_saveexec_b32 s54, s0
	s_cbranch_execz .LBB17_28
; %bb.24:                               ;   in Loop: Header=BB17_4 Depth=1
	v_mov_b32_e32 v10, v4
	s_lshl_b64 s[50:51], s[26:27], 3
	v_mov_b32_e32 v9, v3
	v_mov_b32_e32 v11, v0
	s_add_u32 s55, s81, s50
	s_addc_u32 s85, s82, s51
	s_mov_b32 s86, 0
	s_branch .LBB17_26
.LBB17_25:                              ;   in Loop: Header=BB17_26 Depth=2
	v_add_nc_u32_e32 v11, s4, v11
	v_add_co_u32 v9, s2, v9, s36
	v_add_co_ci_u32_e64 v10, null, s37, v10, s2
	v_cmp_le_i32_e32 vcc_lo, s3, v11
	s_waitcnt vmcnt(0)
	global_store_dwordx2 v[12:13], v[14:15], off
	s_or_b32 s86, vcc_lo, s86
	s_andn2_b32 exec_lo, exec_lo, s86
	s_cbranch_execz .LBB17_28
.LBB17_26:                              ;   Parent Loop BB17_4 Depth=1
                                        ; =>  This Loop Header: Depth=2
                                        ;       Child Loop BB17_27 Depth 3
	v_ashrrev_i32_e32 v12, 31, v11
	v_mov_b32_e32 v17, v10
	v_mov_b32_e32 v16, v9
	s_mov_b64 s[50:51], s[40:41]
	s_mov_b64 s[52:53], s[16:17]
	v_lshlrev_b64 v[12:13], 3, v[11:12]
	s_mov_b32 s2, s69
	v_add_co_u32 v12, vcc_lo, s55, v12
	v_add_co_ci_u32_e64 v13, null, s85, v13, vcc_lo
	s_andn2_b32 vcc_lo, exec_lo, s70
	global_load_dwordx2 v[14:15], v[12:13], off
	s_cbranch_vccnz .LBB17_25
	.p2align	6
.LBB17_27:                              ;   Parent Loop BB17_4 Depth=1
                                        ;     Parent Loop BB17_26 Depth=2
                                        ; =>    This Inner Loop Header: Depth=3
	global_load_dwordx2 v[37:38], v[16:17], off
	s_clause 0x1
	global_load_dwordx2 v[39:40], v36, s[52:53]
	global_load_dwordx2 v[41:42], v36, s[50:51]
	s_add_i32 s2, s2, -1
	s_add_u32 s52, s52, 8
	s_addc_u32 s53, s53, 0
	s_add_u32 s50, s50, 8
	s_addc_u32 s51, s51, 0
	s_cmp_eq_u32 s2, 0
	s_waitcnt vmcnt(1)
	v_mul_f64 v[43:44], v[39:40], v[37:38]
	s_waitcnt vmcnt(0)
	v_mul_f64 v[37:38], v[41:42], v[37:38]
	v_fma_f64 v[41:42], v[14:15], v[41:42], v[43:44]
	v_fma_f64 v[14:15], v[14:15], v[39:40], -v[37:38]
	global_store_dwordx2 v[16:17], v[41:42], off
	v_add_co_u32 v16, vcc_lo, v16, s34
	v_add_co_ci_u32_e64 v17, null, s35, v17, vcc_lo
	s_cbranch_scc0 .LBB17_27
	s_branch .LBB17_25
.LBB17_28:                              ;   in Loop: Header=BB17_4 Depth=1
	s_or_b32 exec_lo, exec_lo, s54
.LBB17_29:                              ;   in Loop: Header=BB17_4 Depth=1
	s_mov_b32 s2, 0
.LBB17_30:                              ;   in Loop: Header=BB17_4 Depth=1
	s_andn2_b32 vcc_lo, exec_lo, s2
	s_cbranch_vccnz .LBB17_37
; %bb.31:                               ;   in Loop: Header=BB17_4 Depth=1
	s_and_saveexec_b32 s54, s0
	s_cbranch_execz .LBB17_36
; %bb.32:                               ;   in Loop: Header=BB17_4 Depth=1
	v_mov_b32_e32 v10, v6
	v_mov_b32_e32 v9, v5
	;; [unrolled: 1-line block ×3, first 2 shown]
	s_mov_b32 s55, 0
	s_branch .LBB17_34
.LBB17_33:                              ;   in Loop: Header=BB17_34 Depth=2
	v_add_nc_u32_e32 v11, s4, v11
	v_add_co_u32 v9, s2, v9, s36
	v_add_co_ci_u32_e64 v10, null, s37, v10, s2
	v_cmp_le_i32_e32 vcc_lo, s3, v11
	s_waitcnt vmcnt(0)
	global_store_dwordx2 v[12:13], v[14:15], off
	s_or_b32 s55, vcc_lo, s55
	s_andn2_b32 exec_lo, exec_lo, s55
	s_cbranch_execz .LBB17_36
.LBB17_34:                              ;   Parent Loop BB17_4 Depth=1
                                        ; =>  This Loop Header: Depth=2
                                        ;       Child Loop BB17_35 Depth 3
	v_ashrrev_i32_e32 v12, 31, v11
	v_mov_b32_e32 v17, v10
	v_mov_b32_e32 v16, v9
	s_mov_b64 s[50:51], s[48:49]
	s_mov_b64 s[52:53], s[46:47]
	v_lshlrev_b64 v[12:13], 3, v[11:12]
	s_mov_b32 s2, s76
	v_add_co_u32 v12, vcc_lo, s81, v12
	v_add_co_ci_u32_e64 v13, null, s82, v13, vcc_lo
	s_andn2_b32 vcc_lo, exec_lo, s70
	global_load_dwordx2 v[14:15], v[12:13], off
	s_cbranch_vccnz .LBB17_33
	.p2align	6
.LBB17_35:                              ;   Parent Loop BB17_4 Depth=1
                                        ;     Parent Loop BB17_34 Depth=2
                                        ; =>    This Inner Loop Header: Depth=3
	s_clause 0x1
	global_load_dwordx2 v[37:38], v36, s[50:51]
	global_load_dwordx2 v[39:40], v36, s[52:53]
	global_load_dwordx2 v[41:42], v[16:17], off
	s_add_i32 s2, s2, -1
	s_add_u32 s52, s52, -8
	s_addc_u32 s53, s53, -1
	s_add_u32 s50, s50, -8
	s_addc_u32 s51, s51, -1
	s_cmp_lt_u32 s2, 3
	s_waitcnt vmcnt(2)
	v_mul_f64 v[43:44], v[14:15], v[37:38]
	s_waitcnt vmcnt(0)
	v_mul_f64 v[37:38], v[37:38], v[41:42]
	v_fma_f64 v[41:42], v[39:40], v[41:42], -v[43:44]
	v_fma_f64 v[14:15], v[14:15], v[39:40], v[37:38]
	global_store_dwordx2 v[16:17], v[41:42], off
	v_add_co_u32 v16, vcc_lo, v16, s5
	v_add_co_ci_u32_e64 v17, null, s21, v17, vcc_lo
	s_cbranch_scc0 .LBB17_35
	s_branch .LBB17_33
.LBB17_36:                              ;   in Loop: Header=BB17_4 Depth=1
	s_or_b32 exec_lo, exec_lo, s54
.LBB17_37:                              ;   in Loop: Header=BB17_4 Depth=1
	s_mov_b32 s2, 0
.LBB17_38:                              ;   in Loop: Header=BB17_4 Depth=1
	s_andn2_b32 vcc_lo, exec_lo, s2
	s_cbranch_vccnz .LBB17_45
; %bb.39:                               ;   in Loop: Header=BB17_4 Depth=1
	s_and_saveexec_b32 s54, s0
	s_cbranch_execz .LBB17_44
; %bb.40:                               ;   in Loop: Header=BB17_4 Depth=1
	v_add_co_u32 v9, vcc_lo, v24, s84
	v_add_co_ci_u32_e64 v10, null, s83, v25, vcc_lo
	v_mov_b32_e32 v11, v0
	s_mov_b32 s55, 0
	s_branch .LBB17_42
.LBB17_41:                              ;   in Loop: Header=BB17_42 Depth=2
	v_add_nc_u32_e32 v11, s4, v11
	v_add_co_u32 v9, s2, v9, s36
	v_add_co_ci_u32_e64 v10, null, s37, v10, s2
	v_cmp_le_i32_e32 vcc_lo, s3, v11
	s_waitcnt vmcnt(0)
	global_store_dwordx2 v[12:13], v[14:15], off
	s_or_b32 s55, vcc_lo, s55
	s_andn2_b32 exec_lo, exec_lo, s55
	s_cbranch_execz .LBB17_44
.LBB17_42:                              ;   Parent Loop BB17_4 Depth=1
                                        ; =>  This Loop Header: Depth=2
                                        ;       Child Loop BB17_43 Depth 3
	v_ashrrev_i32_e32 v12, 31, v11
	v_mov_b32_e32 v17, v10
	v_mov_b32_e32 v16, v9
	s_mov_b32 s2, s69
	s_mov_b64 s[50:51], s[16:17]
	v_lshlrev_b64 v[12:13], 3, v[11:12]
	s_mov_b64 s[52:53], s[40:41]
	v_add_co_u32 v12, vcc_lo, s81, v12
	v_add_co_ci_u32_e64 v13, null, s82, v13, vcc_lo
	s_andn2_b32 vcc_lo, exec_lo, s70
	global_load_dwordx2 v[14:15], v[12:13], off
	s_cbranch_vccnz .LBB17_41
	.p2align	6
.LBB17_43:                              ;   Parent Loop BB17_4 Depth=1
                                        ;     Parent Loop BB17_42 Depth=2
                                        ; =>    This Inner Loop Header: Depth=3
	s_clause 0x1
	global_load_dwordx2 v[37:38], v36, s[52:53]
	global_load_dwordx2 v[39:40], v36, s[50:51]
	global_load_dwordx2 v[41:42], v[16:17], off
	s_add_u32 s52, s52, 8
	s_addc_u32 s53, s53, 0
	s_add_u32 s50, s50, 8
	s_addc_u32 s51, s51, 0
	s_add_i32 s2, s2, -1
	s_cmp_eq_u32 s2, 0
	s_waitcnt vmcnt(2)
	v_mul_f64 v[43:44], v[14:15], v[37:38]
	s_waitcnt vmcnt(0)
	v_mul_f64 v[37:38], v[37:38], v[41:42]
	v_fma_f64 v[41:42], v[39:40], v[41:42], -v[43:44]
	v_fma_f64 v[14:15], v[14:15], v[39:40], v[37:38]
	global_store_dwordx2 v[16:17], v[41:42], off
	v_add_co_u32 v16, vcc_lo, v16, s34
	v_add_co_ci_u32_e64 v17, null, s35, v17, vcc_lo
	s_cbranch_scc0 .LBB17_43
	s_branch .LBB17_41
.LBB17_44:                              ;   in Loop: Header=BB17_4 Depth=1
	s_or_b32 exec_lo, exec_lo, s54
.LBB17_45:                              ;   in Loop: Header=BB17_4 Depth=1
	s_mov_b32 s2, 0
.LBB17_46:                              ;   in Loop: Header=BB17_4 Depth=1
	s_andn2_b32 vcc_lo, exec_lo, s2
	s_cbranch_vccnz .LBB17_54
; %bb.47:                               ;   in Loop: Header=BB17_4 Depth=1
	s_and_saveexec_b32 s85, s0
	s_cbranch_execz .LBB17_53
; %bb.48:                               ;   in Loop: Header=BB17_4 Depth=1
	s_lshl_b64 s[50:51], s[26:27], 3
	v_mov_b32_e32 v9, v0
	s_add_u32 s86, s81, s50
	s_addc_u32 s87, s82, s51
	s_mov_b32 s88, 0
	s_branch .LBB17_50
.LBB17_49:                              ;   in Loop: Header=BB17_50 Depth=2
	s_inst_prefetch 0x2
	v_add_nc_u32_e32 v9, s4, v9
	v_add_co_u32 v12, vcc_lo, s81, v12
	v_add_co_ci_u32_e64 v13, null, s82, v13, vcc_lo
	v_add_co_u32 v5, vcc_lo, v5, s36
	v_add_co_ci_u32_e64 v6, null, s37, v6, vcc_lo
	v_cmp_le_i32_e32 vcc_lo, s3, v9
	v_add_co_u32 v7, s2, v7, s36
	v_add_co_ci_u32_e64 v8, null, s37, v8, s2
	s_or_b32 s88, vcc_lo, s88
	s_waitcnt vmcnt(0)
	global_store_dwordx2 v[12:13], v[10:11], off
	s_andn2_b32 exec_lo, exec_lo, s88
	s_cbranch_execz .LBB17_53
.LBB17_50:                              ;   Parent Loop BB17_4 Depth=1
                                        ; =>  This Loop Header: Depth=2
                                        ;       Child Loop BB17_52 Depth 3
	v_ashrrev_i32_e32 v10, 31, v9
	v_lshlrev_b64 v[12:13], 3, v[9:10]
	v_add_co_u32 v10, vcc_lo, s86, v12
	v_add_co_ci_u32_e64 v11, null, s87, v13, vcc_lo
	s_andn2_b32 vcc_lo, exec_lo, s70
	global_load_dwordx2 v[10:11], v[10:11], off
	s_cbranch_vccnz .LBB17_49
; %bb.51:                               ;   in Loop: Header=BB17_50 Depth=2
	s_mov_b64 s[50:51], 0
	s_mov_b64 s[52:53], s[48:49]
	;; [unrolled: 1-line block ×3, first 2 shown]
	s_mov_b32 s2, s69
	s_inst_prefetch 0x1
	.p2align	6
.LBB17_52:                              ;   Parent Loop BB17_4 Depth=1
                                        ;     Parent Loop BB17_50 Depth=2
                                        ; =>    This Inner Loop Header: Depth=3
	v_add_co_u32 v14, vcc_lo, v7, s50
	v_add_co_ci_u32_e64 v15, null, s51, v8, vcc_lo
	s_add_i32 s2, s2, -1
	s_clause 0x1
	global_load_dwordx2 v[16:17], v36, s[54:55]
	global_load_dwordx2 v[37:38], v36, s[52:53]
	global_load_dwordx2 v[14:15], v[14:15], off
	s_waitcnt vmcnt(0)
	v_mul_f64 v[39:40], v[37:38], v[14:15]
	v_mul_f64 v[14:15], v[16:17], v[14:15]
	v_fma_f64 v[16:17], v[10:11], v[16:17], -v[39:40]
	v_fma_f64 v[10:11], v[10:11], v[37:38], v[14:15]
	v_add_co_u32 v14, vcc_lo, v5, s50
	s_sub_u32 s50, s50, s34
	v_add_co_ci_u32_e64 v15, null, s51, v6, vcc_lo
	s_subb_u32 s51, s51, s35
	s_add_u32 s54, s54, -8
	s_addc_u32 s55, s55, -1
	s_add_u32 s52, s52, -8
	s_addc_u32 s53, s53, -1
	s_cmp_eq_u32 s2, 0
	global_store_dwordx2 v[14:15], v[16:17], off
	s_cbranch_scc0 .LBB17_52
	s_branch .LBB17_49
.LBB17_53:                              ;   in Loop: Header=BB17_4 Depth=1
	s_or_b32 exec_lo, exec_lo, s85
.LBB17_54:                              ;   in Loop: Header=BB17_4 Depth=1
	s_mov_b32 s46, 0
.LBB17_55:                              ;   in Loop: Header=BB17_4 Depth=1
	s_andn2_b32 vcc_lo, exec_lo, s46
	s_cbranch_vccnz .LBB17_62
; %bb.56:                               ;   in Loop: Header=BB17_4 Depth=1
	s_and_saveexec_b32 s50, s0
	s_cbranch_execz .LBB17_61
; %bb.57:                               ;   in Loop: Header=BB17_4 Depth=1
	s_lshl_b64 s[46:47], s[26:27], 3
	v_mov_b32_e32 v5, v0
	s_add_u32 s51, s81, s46
	s_addc_u32 s52, s82, s47
	s_mov_b32 s53, 0
	s_branch .LBB17_59
.LBB17_58:                              ;   in Loop: Header=BB17_59 Depth=2
	v_add_nc_u32_e32 v5, s4, v5
	v_add_co_u32 v8, vcc_lo, s51, v8
	v_add_co_ci_u32_e64 v9, null, s52, v9, vcc_lo
	v_cmp_le_i32_e32 vcc_lo, s3, v5
	v_add_co_u32 v3, s2, v3, s36
	v_add_co_ci_u32_e64 v4, null, s37, v4, s2
	s_or_b32 s53, vcc_lo, s53
	s_waitcnt vmcnt(0)
	global_store_dwordx2 v[8:9], v[6:7], off
	s_andn2_b32 exec_lo, exec_lo, s53
	s_cbranch_execz .LBB17_61
.LBB17_59:                              ;   Parent Loop BB17_4 Depth=1
                                        ; =>  This Loop Header: Depth=2
                                        ;       Child Loop BB17_60 Depth 3
	v_ashrrev_i32_e32 v6, 31, v5
	v_mov_b32_e32 v11, v4
	v_mov_b32_e32 v10, v3
	s_mov_b64 s[46:47], s[40:41]
	s_mov_b64 s[48:49], s[16:17]
	v_lshlrev_b64 v[8:9], 3, v[5:6]
	s_mov_b32 s2, s69
	v_add_co_u32 v6, vcc_lo, s81, v8
	v_add_co_ci_u32_e64 v7, null, s82, v9, vcc_lo
	s_andn2_b32 vcc_lo, exec_lo, s70
	global_load_dwordx2 v[6:7], v[6:7], off
	s_cbranch_vccnz .LBB17_58
	.p2align	6
.LBB17_60:                              ;   Parent Loop BB17_4 Depth=1
                                        ;     Parent Loop BB17_59 Depth=2
                                        ; =>    This Inner Loop Header: Depth=3
	v_add_co_u32 v12, vcc_lo, v10, s34
	v_add_co_ci_u32_e64 v13, null, s35, v11, vcc_lo
	s_add_i32 s2, s2, -1
	global_load_dwordx2 v[14:15], v[12:13], off
	s_clause 0x1
	global_load_dwordx2 v[16:17], v36, s[46:47]
	global_load_dwordx2 v[37:38], v36, s[48:49]
	s_add_u32 s48, s48, 8
	s_addc_u32 s49, s49, 0
	s_add_u32 s46, s46, 8
	s_addc_u32 s47, s47, 0
	s_cmp_eq_u32 s2, 0
	s_waitcnt vmcnt(1)
	v_mul_f64 v[39:40], v[16:17], v[14:15]
	v_mul_f64 v[16:17], v[6:7], v[16:17]
	s_waitcnt vmcnt(0)
	v_fma_f64 v[39:40], v[6:7], v[37:38], v[39:40]
	v_fma_f64 v[6:7], v[37:38], v[14:15], -v[16:17]
	global_store_dwordx2 v[10:11], v[39:40], off
	v_mov_b32_e32 v10, v12
	v_mov_b32_e32 v11, v13
	s_cbranch_scc0 .LBB17_60
	s_branch .LBB17_58
.LBB17_61:                              ;   in Loop: Header=BB17_4 Depth=1
	s_or_b32 exec_lo, exec_lo, s50
.LBB17_62:                              ;   in Loop: Header=BB17_4 Depth=1
	s_mov_b32 s46, 0
.LBB17_63:                              ;   in Loop: Header=BB17_4 Depth=1
	s_andn2_b32 vcc_lo, exec_lo, s46
	s_cbranch_vccnz .LBB17_70
; %bb.64:                               ;   in Loop: Header=BB17_4 Depth=1
	s_and_saveexec_b32 s50, s1
	s_cbranch_execz .LBB17_69
; %bb.65:                               ;   in Loop: Header=BB17_4 Depth=1
	v_add_co_u32 v3, vcc_lo, v26, s84
	v_add_co_ci_u32_e64 v4, null, s83, v27, vcc_lo
	s_lshl_b64 s[46:47], s[28:29], 3
	v_mov_b32_e32 v11, v0
	s_add_u32 s51, s81, s46
	s_addc_u32 s52, s82, s47
	s_mov_b32 s53, 0
	s_branch .LBB17_67
.LBB17_66:                              ;   in Loop: Header=BB17_67 Depth=2
	v_add_nc_u32_e32 v11, s4, v11
	v_add_co_u32 v3, s2, v3, s38
	v_add_co_ci_u32_e64 v4, null, s39, v4, s2
	v_cmp_le_i32_e32 vcc_lo, s56, v11
	s_waitcnt vmcnt(0)
	global_store_dwordx2 v[5:6], v[7:8], off offset:-8
	s_or_b32 s53, vcc_lo, s53
	s_andn2_b32 exec_lo, exec_lo, s53
	s_cbranch_execz .LBB17_69
.LBB17_67:                              ;   Parent Loop BB17_4 Depth=1
                                        ; =>  This Loop Header: Depth=2
                                        ;       Child Loop BB17_68 Depth 3
	v_mad_i64_i32 v[5:6], null, v11, s20, 0
	v_mov_b32_e32 v10, v4
	v_mov_b32_e32 v9, v3
	s_mov_b64 s[46:47], s[44:45]
	s_mov_b64 s[48:49], s[42:43]
	s_mov_b32 s2, s24
	v_lshlrev_b64 v[5:6], 3, v[5:6]
	v_add_co_u32 v5, vcc_lo, s51, v5
	v_add_co_ci_u32_e64 v6, null, s52, v6, vcc_lo
	s_andn2_b32 vcc_lo, exec_lo, s71
	global_load_dwordx2 v[7:8], v[5:6], off offset:-8
	s_cbranch_vccnz .LBB17_66
	.p2align	6
.LBB17_68:                              ;   Parent Loop BB17_4 Depth=1
                                        ;     Parent Loop BB17_67 Depth=2
                                        ; =>    This Inner Loop Header: Depth=3
	global_load_dwordx2 v[12:13], v[9:10], off
	s_clause 0x1
	global_load_dwordx2 v[14:15], v36, s[48:49]
	global_load_dwordx2 v[16:17], v36, s[46:47]
	s_add_i32 s2, s2, -1
	s_add_u32 s48, s48, -8
	s_addc_u32 s49, s49, -1
	s_add_u32 s46, s46, -8
	s_addc_u32 s47, s47, -1
	s_cmp_eq_u32 s2, 0
	s_waitcnt vmcnt(1)
	v_mul_f64 v[37:38], v[14:15], v[12:13]
	s_waitcnt vmcnt(0)
	v_mul_f64 v[12:13], v[16:17], v[12:13]
	v_fma_f64 v[16:17], v[7:8], v[16:17], v[37:38]
	v_fma_f64 v[7:8], v[7:8], v[14:15], -v[12:13]
	global_store_dwordx2 v[9:10], v[16:17], off
	v_add_co_u32 v9, vcc_lo, v9, -8
	v_add_co_ci_u32_e64 v10, null, -1, v10, vcc_lo
	s_cbranch_scc0 .LBB17_68
	s_branch .LBB17_66
.LBB17_69:                              ;   in Loop: Header=BB17_4 Depth=1
	s_or_b32 exec_lo, exec_lo, s50
.LBB17_70:                              ;   in Loop: Header=BB17_4 Depth=1
	s_mov_b32 s46, 0
.LBB17_71:                              ;   in Loop: Header=BB17_4 Depth=1
	s_andn2_b32 vcc_lo, exec_lo, s46
	s_cbranch_vccnz .LBB17_78
; %bb.72:                               ;   in Loop: Header=BB17_4 Depth=1
	s_and_saveexec_b32 s50, s1
	s_cbranch_execz .LBB17_77
; %bb.73:                               ;   in Loop: Header=BB17_4 Depth=1
	v_add_co_u32 v3, vcc_lo, v28, s84
	v_add_co_ci_u32_e64 v4, null, s83, v29, vcc_lo
	s_lshl_b64 s[46:47], s[28:29], 3
	v_mov_b32_e32 v11, v0
	s_add_u32 s51, s81, s46
	s_addc_u32 s52, s82, s47
	s_mov_b32 s53, 0
	s_branch .LBB17_75
.LBB17_74:                              ;   in Loop: Header=BB17_75 Depth=2
	v_add_nc_u32_e32 v11, s4, v11
	v_add_co_u32 v3, s2, v3, s38
	v_add_co_ci_u32_e64 v4, null, s39, v4, s2
	v_cmp_le_i32_e32 vcc_lo, s56, v11
	s_waitcnt vmcnt(0)
	global_store_dwordx2 v[5:6], v[7:8], off offset:-8
	s_or_b32 s53, vcc_lo, s53
	s_andn2_b32 exec_lo, exec_lo, s53
	s_cbranch_execz .LBB17_77
.LBB17_75:                              ;   Parent Loop BB17_4 Depth=1
                                        ; =>  This Loop Header: Depth=2
                                        ;       Child Loop BB17_76 Depth 3
	v_mad_i64_i32 v[5:6], null, v11, s20, 0
	v_mov_b32_e32 v10, v4
	v_mov_b32_e32 v9, v3
	s_mov_b64 s[46:47], s[40:41]
	s_mov_b64 s[48:49], s[16:17]
	s_mov_b32 s2, s24
	v_lshlrev_b64 v[5:6], 3, v[5:6]
	v_add_co_u32 v5, vcc_lo, s51, v5
	v_add_co_ci_u32_e64 v6, null, s52, v6, vcc_lo
	s_andn2_b32 vcc_lo, exec_lo, s71
	global_load_dwordx2 v[7:8], v[5:6], off offset:-8
	s_cbranch_vccnz .LBB17_74
	.p2align	6
.LBB17_76:                              ;   Parent Loop BB17_4 Depth=1
                                        ;     Parent Loop BB17_75 Depth=2
                                        ; =>    This Inner Loop Header: Depth=3
	global_load_dwordx2 v[12:13], v[9:10], off
	s_clause 0x1
	global_load_dwordx2 v[14:15], v36, s[48:49]
	global_load_dwordx2 v[16:17], v36, s[46:47]
	s_add_i32 s2, s2, -1
	s_add_u32 s48, s48, 8
	s_addc_u32 s49, s49, 0
	s_add_u32 s46, s46, 8
	s_addc_u32 s47, s47, 0
	s_cmp_eq_u32 s2, 0
	s_waitcnt vmcnt(1)
	v_mul_f64 v[37:38], v[14:15], v[12:13]
	s_waitcnt vmcnt(0)
	v_mul_f64 v[12:13], v[16:17], v[12:13]
	v_fma_f64 v[16:17], v[7:8], v[16:17], v[37:38]
	v_fma_f64 v[7:8], v[7:8], v[14:15], -v[12:13]
	global_store_dwordx2 v[9:10], v[16:17], off
	v_add_co_u32 v9, vcc_lo, v9, 8
	v_add_co_ci_u32_e64 v10, null, 0, v10, vcc_lo
	s_cbranch_scc0 .LBB17_76
	s_branch .LBB17_74
.LBB17_77:                              ;   in Loop: Header=BB17_4 Depth=1
	s_or_b32 exec_lo, exec_lo, s50
.LBB17_78:                              ;   in Loop: Header=BB17_4 Depth=1
	s_mov_b32 s46, 0
.LBB17_79:                              ;   in Loop: Header=BB17_4 Depth=1
	s_andn2_b32 vcc_lo, exec_lo, s46
	s_cbranch_vccnz .LBB17_86
; %bb.80:                               ;   in Loop: Header=BB17_4 Depth=1
	s_and_saveexec_b32 s50, s1
	s_cbranch_execz .LBB17_85
; %bb.81:                               ;   in Loop: Header=BB17_4 Depth=1
	v_add_co_u32 v3, vcc_lo, v30, s84
	v_add_co_ci_u32_e64 v4, null, s83, v31, vcc_lo
	v_mov_b32_e32 v11, v0
	s_mov_b32 s51, 0
	s_branch .LBB17_83
.LBB17_82:                              ;   in Loop: Header=BB17_83 Depth=2
	v_add_nc_u32_e32 v11, s4, v11
	v_add_co_u32 v3, s2, v3, s38
	v_add_co_ci_u32_e64 v4, null, s39, v4, s2
	v_cmp_le_i32_e32 vcc_lo, s56, v11
	s_waitcnt vmcnt(0)
	global_store_dwordx2 v[5:6], v[7:8], off
	s_or_b32 s51, vcc_lo, s51
	s_andn2_b32 exec_lo, exec_lo, s51
	s_cbranch_execz .LBB17_85
.LBB17_83:                              ;   Parent Loop BB17_4 Depth=1
                                        ; =>  This Loop Header: Depth=2
                                        ;       Child Loop BB17_84 Depth 3
	v_mad_i64_i32 v[5:6], null, v11, s20, 0
	v_mov_b32_e32 v10, v4
	v_mov_b32_e32 v9, v3
	s_mov_b64 s[46:47], s[44:45]
	s_mov_b64 s[48:49], s[42:43]
	s_mov_b32 s2, s25
	v_lshlrev_b64 v[5:6], 3, v[5:6]
	v_add_co_u32 v5, vcc_lo, s81, v5
	v_add_co_ci_u32_e64 v6, null, s82, v6, vcc_lo
	s_andn2_b32 vcc_lo, exec_lo, s71
	global_load_dwordx2 v[7:8], v[5:6], off
	s_cbranch_vccnz .LBB17_82
	.p2align	6
.LBB17_84:                              ;   Parent Loop BB17_4 Depth=1
                                        ;     Parent Loop BB17_83 Depth=2
                                        ; =>    This Inner Loop Header: Depth=3
	s_clause 0x1
	global_load_dwordx2 v[12:13], v36, s[46:47]
	global_load_dwordx2 v[14:15], v36, s[48:49]
	global_load_dwordx2 v[16:17], v[9:10], off
	s_add_i32 s2, s2, -1
	s_add_u32 s48, s48, -8
	s_addc_u32 s49, s49, -1
	s_add_u32 s46, s46, -8
	s_addc_u32 s47, s47, -1
	s_cmp_lt_u32 s2, 3
	s_waitcnt vmcnt(2)
	v_mul_f64 v[37:38], v[7:8], v[12:13]
	s_waitcnt vmcnt(0)
	v_mul_f64 v[12:13], v[12:13], v[16:17]
	v_fma_f64 v[16:17], v[14:15], v[16:17], -v[37:38]
	v_fma_f64 v[7:8], v[7:8], v[14:15], v[12:13]
	global_store_dwordx2 v[9:10], v[16:17], off
	v_add_co_u32 v9, vcc_lo, v9, -8
	v_add_co_ci_u32_e64 v10, null, -1, v10, vcc_lo
	s_cbranch_scc0 .LBB17_84
	s_branch .LBB17_82
.LBB17_85:                              ;   in Loop: Header=BB17_4 Depth=1
	s_or_b32 exec_lo, exec_lo, s50
.LBB17_86:                              ;   in Loop: Header=BB17_4 Depth=1
	s_mov_b32 s46, 0
.LBB17_87:                              ;   in Loop: Header=BB17_4 Depth=1
	s_andn2_b32 vcc_lo, exec_lo, s46
	s_cbranch_vccnz .LBB17_94
; %bb.88:                               ;   in Loop: Header=BB17_4 Depth=1
	s_and_saveexec_b32 s50, s1
	s_cbranch_execz .LBB17_93
; %bb.89:                               ;   in Loop: Header=BB17_4 Depth=1
	v_mov_b32_e32 v4, v2
	v_mov_b32_e32 v3, v1
	;; [unrolled: 1-line block ×3, first 2 shown]
	s_mov_b32 s51, 0
	s_branch .LBB17_91
.LBB17_90:                              ;   in Loop: Header=BB17_91 Depth=2
	v_add_nc_u32_e32 v11, s4, v11
	v_add_co_u32 v3, s2, v3, s38
	v_add_co_ci_u32_e64 v4, null, s39, v4, s2
	v_cmp_le_i32_e32 vcc_lo, s56, v11
	s_waitcnt vmcnt(0)
	global_store_dwordx2 v[5:6], v[7:8], off
	s_or_b32 s51, vcc_lo, s51
	s_andn2_b32 exec_lo, exec_lo, s51
	s_cbranch_execz .LBB17_93
.LBB17_91:                              ;   Parent Loop BB17_4 Depth=1
                                        ; =>  This Loop Header: Depth=2
                                        ;       Child Loop BB17_92 Depth 3
	v_mad_i64_i32 v[5:6], null, v11, s20, 0
	v_mov_b32_e32 v10, v4
	v_mov_b32_e32 v9, v3
	s_mov_b32 s2, s24
	s_mov_b64 s[46:47], s[16:17]
	s_mov_b64 s[48:49], s[40:41]
	v_lshlrev_b64 v[5:6], 3, v[5:6]
	v_add_co_u32 v5, vcc_lo, s81, v5
	v_add_co_ci_u32_e64 v6, null, s82, v6, vcc_lo
	s_andn2_b32 vcc_lo, exec_lo, s71
	global_load_dwordx2 v[7:8], v[5:6], off
	s_cbranch_vccnz .LBB17_90
	.p2align	6
.LBB17_92:                              ;   Parent Loop BB17_4 Depth=1
                                        ;     Parent Loop BB17_91 Depth=2
                                        ; =>    This Inner Loop Header: Depth=3
	s_clause 0x1
	global_load_dwordx2 v[12:13], v36, s[48:49]
	global_load_dwordx2 v[14:15], v36, s[46:47]
	global_load_dwordx2 v[16:17], v[9:10], off
	s_add_u32 s48, s48, 8
	s_addc_u32 s49, s49, 0
	s_add_u32 s46, s46, 8
	s_addc_u32 s47, s47, 0
	s_add_i32 s2, s2, -1
	s_cmp_eq_u32 s2, 0
	s_waitcnt vmcnt(2)
	v_mul_f64 v[37:38], v[7:8], v[12:13]
	s_waitcnt vmcnt(0)
	v_mul_f64 v[12:13], v[12:13], v[16:17]
	v_fma_f64 v[16:17], v[14:15], v[16:17], -v[37:38]
	v_fma_f64 v[7:8], v[7:8], v[14:15], v[12:13]
	global_store_dwordx2 v[9:10], v[16:17], off
	v_add_co_u32 v9, vcc_lo, v9, 8
	v_add_co_ci_u32_e64 v10, null, 0, v10, vcc_lo
	s_cbranch_scc0 .LBB17_92
	s_branch .LBB17_90
.LBB17_93:                              ;   in Loop: Header=BB17_4 Depth=1
	s_or_b32 exec_lo, exec_lo, s50
.LBB17_94:                              ;   in Loop: Header=BB17_4 Depth=1
	s_mov_b32 s46, 0
.LBB17_95:                              ;   in Loop: Header=BB17_4 Depth=1
	s_andn2_b32 vcc_lo, exec_lo, s46
	s_cbranch_vccnz .LBB17_102
; %bb.96:                               ;   in Loop: Header=BB17_4 Depth=1
	s_and_saveexec_b32 s50, s1
	s_cbranch_execz .LBB17_101
; %bb.97:                               ;   in Loop: Header=BB17_4 Depth=1
	v_add_co_u32 v3, vcc_lo, v34, s84
	v_add_co_ci_u32_e64 v4, null, s83, v35, vcc_lo
	s_lshl_b64 s[46:47], s[28:29], 3
	v_mov_b32_e32 v11, v0
	s_add_u32 s51, s81, s46
	s_addc_u32 s52, s82, s47
	s_mov_b32 s53, 0
	s_branch .LBB17_99
.LBB17_98:                              ;   in Loop: Header=BB17_99 Depth=2
	v_add_nc_u32_e32 v11, s4, v11
	v_add_co_u32 v7, vcc_lo, s81, v7
	v_add_co_ci_u32_e64 v8, null, s82, v8, vcc_lo
	v_cmp_le_i32_e32 vcc_lo, s56, v11
	v_add_co_u32 v3, s2, v3, s38
	v_add_co_ci_u32_e64 v4, null, s39, v4, s2
	s_or_b32 s53, vcc_lo, s53
	s_waitcnt vmcnt(0)
	global_store_dwordx2 v[7:8], v[5:6], off
	s_andn2_b32 exec_lo, exec_lo, s53
	s_cbranch_execz .LBB17_101
.LBB17_99:                              ;   Parent Loop BB17_4 Depth=1
                                        ; =>  This Loop Header: Depth=2
                                        ;       Child Loop BB17_100 Depth 3
	v_mad_i64_i32 v[5:6], null, v11, s20, 0
	v_mov_b32_e32 v10, v4
	v_mov_b32_e32 v9, v3
	s_mov_b64 s[46:47], s[44:45]
	s_mov_b64 s[48:49], s[42:43]
	s_mov_b32 s2, s24
	v_lshlrev_b64 v[7:8], 3, v[5:6]
	v_add_co_u32 v5, vcc_lo, s51, v7
	v_add_co_ci_u32_e64 v6, null, s52, v8, vcc_lo
	s_andn2_b32 vcc_lo, exec_lo, s71
	global_load_dwordx2 v[5:6], v[5:6], off offset:-8
	s_cbranch_vccnz .LBB17_98
	.p2align	6
.LBB17_100:                             ;   Parent Loop BB17_4 Depth=1
                                        ;     Parent Loop BB17_99 Depth=2
                                        ; =>    This Inner Loop Header: Depth=3
	global_load_dwordx2 v[12:13], v[9:10], off offset:-8
	s_clause 0x1
	global_load_dwordx2 v[14:15], v36, s[46:47]
	global_load_dwordx2 v[16:17], v36, s[48:49]
	s_add_i32 s2, s2, -1
	s_add_u32 s48, s48, -8
	s_addc_u32 s49, s49, -1
	s_add_u32 s46, s46, -8
	s_addc_u32 s47, s47, -1
	s_cmp_eq_u32 s2, 0
	s_waitcnt vmcnt(1)
	v_mul_f64 v[37:38], v[14:15], v[12:13]
	s_waitcnt vmcnt(0)
	v_mul_f64 v[12:13], v[16:17], v[12:13]
	v_fma_f64 v[16:17], v[5:6], v[16:17], -v[37:38]
	v_fma_f64 v[5:6], v[5:6], v[14:15], v[12:13]
	v_add_co_u32 v12, vcc_lo, v9, -8
	v_add_co_ci_u32_e64 v13, null, -1, v10, vcc_lo
	global_store_dwordx2 v[9:10], v[16:17], off
	v_mov_b32_e32 v9, v12
	v_mov_b32_e32 v10, v13
	s_cbranch_scc0 .LBB17_100
	s_branch .LBB17_98
.LBB17_101:                             ;   in Loop: Header=BB17_4 Depth=1
	s_or_b32 exec_lo, exec_lo, s50
.LBB17_102:                             ;   in Loop: Header=BB17_4 Depth=1
	s_cbranch_execnz .LBB17_3
.LBB17_103:                             ;   in Loop: Header=BB17_4 Depth=1
	s_and_saveexec_b32 s46, s1
	s_cbranch_execz .LBB17_2
; %bb.104:                              ;   in Loop: Header=BB17_4 Depth=1
	s_lshl_b64 s[42:43], s[28:29], 3
	v_mov_b32_e32 v9, v0
	s_add_u32 s47, s81, s42
	s_addc_u32 s48, s82, s43
	s_mov_b32 s49, 0
	s_branch .LBB17_106
.LBB17_105:                             ;   in Loop: Header=BB17_106 Depth=2
	v_add_nc_u32_e32 v9, s4, v9
	v_add_co_u32 v5, vcc_lo, s47, v5
	v_add_co_ci_u32_e64 v6, null, s48, v6, vcc_lo
	v_cmp_le_i32_e32 vcc_lo, s56, v9
	v_add_co_u32 v1, s2, v1, s38
	v_add_co_ci_u32_e64 v2, null, s39, v2, s2
	s_or_b32 s49, vcc_lo, s49
	s_waitcnt vmcnt(0)
	global_store_dwordx2 v[5:6], v[3:4], off offset:-8
	s_andn2_b32 exec_lo, exec_lo, s49
	s_cbranch_execz .LBB17_2
.LBB17_106:                             ;   Parent Loop BB17_4 Depth=1
                                        ; =>  This Loop Header: Depth=2
                                        ;       Child Loop BB17_107 Depth 3
	v_mad_i64_i32 v[3:4], null, v9, s20, 0
	v_mov_b32_e32 v8, v2
	v_mov_b32_e32 v7, v1
	s_mov_b64 s[42:43], s[40:41]
	s_mov_b64 s[44:45], s[16:17]
	s_mov_b32 s2, s24
	v_lshlrev_b64 v[5:6], 3, v[3:4]
	v_add_co_u32 v3, vcc_lo, s81, v5
	v_add_co_ci_u32_e64 v4, null, s82, v6, vcc_lo
	s_andn2_b32 vcc_lo, exec_lo, s71
	global_load_dwordx2 v[3:4], v[3:4], off
	s_cbranch_vccnz .LBB17_105
	.p2align	6
.LBB17_107:                             ;   Parent Loop BB17_4 Depth=1
                                        ;     Parent Loop BB17_106 Depth=2
                                        ; =>    This Inner Loop Header: Depth=3
	global_load_dwordx2 v[10:11], v[7:8], off
	s_clause 0x1
	global_load_dwordx2 v[12:13], v36, s[42:43]
	global_load_dwordx2 v[14:15], v36, s[44:45]
	s_add_i32 s2, s2, -1
	s_add_u32 s44, s44, 8
	s_addc_u32 s45, s45, 0
	s_add_u32 s42, s42, 8
	s_addc_u32 s43, s43, 0
	s_cmp_eq_u32 s2, 0
	s_waitcnt vmcnt(1)
	v_mul_f64 v[16:17], v[12:13], v[10:11]
	v_mul_f64 v[12:13], v[3:4], v[12:13]
	s_waitcnt vmcnt(0)
	v_fma_f64 v[16:17], v[3:4], v[14:15], v[16:17]
	v_fma_f64 v[3:4], v[14:15], v[10:11], -v[12:13]
	global_store_dwordx2 v[7:8], v[16:17], off offset:-8
	v_add_co_u32 v7, vcc_lo, v7, 8
	v_add_co_ci_u32_e64 v8, null, 0, v8, vcc_lo
	s_cbranch_scc0 .LBB17_107
	s_branch .LBB17_105
.LBB17_108:
	s_endpgm
	.section	.rodata,"a",@progbits
	.p2align	6, 0x0
	.amdhsa_kernel _ZN9rocsolver6v33100L11lasr_kernelIddPdiEEv13rocblas_side_14rocblas_pivot_15rocblas_direct_T2_S6_PT0_lS8_lT1_lS6_lS6_
		.amdhsa_group_segment_fixed_size 0
		.amdhsa_private_segment_fixed_size 0
		.amdhsa_kernarg_size 352
		.amdhsa_user_sgpr_count 6
		.amdhsa_user_sgpr_private_segment_buffer 1
		.amdhsa_user_sgpr_dispatch_ptr 0
		.amdhsa_user_sgpr_queue_ptr 0
		.amdhsa_user_sgpr_kernarg_segment_ptr 1
		.amdhsa_user_sgpr_dispatch_id 0
		.amdhsa_user_sgpr_flat_scratch_init 0
		.amdhsa_user_sgpr_private_segment_size 0
		.amdhsa_wavefront_size32 1
		.amdhsa_uses_dynamic_stack 0
		.amdhsa_system_sgpr_private_segment_wavefront_offset 0
		.amdhsa_system_sgpr_workgroup_id_x 1
		.amdhsa_system_sgpr_workgroup_id_y 0
		.amdhsa_system_sgpr_workgroup_id_z 1
		.amdhsa_system_sgpr_workgroup_info 0
		.amdhsa_system_vgpr_workitem_id 0
		.amdhsa_next_free_vgpr 45
		.amdhsa_next_free_sgpr 89
		.amdhsa_reserve_vcc 1
		.amdhsa_reserve_flat_scratch 0
		.amdhsa_float_round_mode_32 0
		.amdhsa_float_round_mode_16_64 0
		.amdhsa_float_denorm_mode_32 3
		.amdhsa_float_denorm_mode_16_64 3
		.amdhsa_dx10_clamp 1
		.amdhsa_ieee_mode 1
		.amdhsa_fp16_overflow 0
		.amdhsa_workgroup_processor_mode 1
		.amdhsa_memory_ordered 1
		.amdhsa_forward_progress 1
		.amdhsa_shared_vgpr_count 0
		.amdhsa_exception_fp_ieee_invalid_op 0
		.amdhsa_exception_fp_denorm_src 0
		.amdhsa_exception_fp_ieee_div_zero 0
		.amdhsa_exception_fp_ieee_overflow 0
		.amdhsa_exception_fp_ieee_underflow 0
		.amdhsa_exception_fp_ieee_inexact 0
		.amdhsa_exception_int_div_zero 0
	.end_amdhsa_kernel
	.section	.text._ZN9rocsolver6v33100L11lasr_kernelIddPdiEEv13rocblas_side_14rocblas_pivot_15rocblas_direct_T2_S6_PT0_lS8_lT1_lS6_lS6_,"axG",@progbits,_ZN9rocsolver6v33100L11lasr_kernelIddPdiEEv13rocblas_side_14rocblas_pivot_15rocblas_direct_T2_S6_PT0_lS8_lT1_lS6_lS6_,comdat
.Lfunc_end17:
	.size	_ZN9rocsolver6v33100L11lasr_kernelIddPdiEEv13rocblas_side_14rocblas_pivot_15rocblas_direct_T2_S6_PT0_lS8_lT1_lS6_lS6_, .Lfunc_end17-_ZN9rocsolver6v33100L11lasr_kernelIddPdiEEv13rocblas_side_14rocblas_pivot_15rocblas_direct_T2_S6_PT0_lS8_lT1_lS6_lS6_
                                        ; -- End function
	.set _ZN9rocsolver6v33100L11lasr_kernelIddPdiEEv13rocblas_side_14rocblas_pivot_15rocblas_direct_T2_S6_PT0_lS8_lT1_lS6_lS6_.num_vgpr, 45
	.set _ZN9rocsolver6v33100L11lasr_kernelIddPdiEEv13rocblas_side_14rocblas_pivot_15rocblas_direct_T2_S6_PT0_lS8_lT1_lS6_lS6_.num_agpr, 0
	.set _ZN9rocsolver6v33100L11lasr_kernelIddPdiEEv13rocblas_side_14rocblas_pivot_15rocblas_direct_T2_S6_PT0_lS8_lT1_lS6_lS6_.numbered_sgpr, 89
	.set _ZN9rocsolver6v33100L11lasr_kernelIddPdiEEv13rocblas_side_14rocblas_pivot_15rocblas_direct_T2_S6_PT0_lS8_lT1_lS6_lS6_.num_named_barrier, 0
	.set _ZN9rocsolver6v33100L11lasr_kernelIddPdiEEv13rocblas_side_14rocblas_pivot_15rocblas_direct_T2_S6_PT0_lS8_lT1_lS6_lS6_.private_seg_size, 0
	.set _ZN9rocsolver6v33100L11lasr_kernelIddPdiEEv13rocblas_side_14rocblas_pivot_15rocblas_direct_T2_S6_PT0_lS8_lT1_lS6_lS6_.uses_vcc, 1
	.set _ZN9rocsolver6v33100L11lasr_kernelIddPdiEEv13rocblas_side_14rocblas_pivot_15rocblas_direct_T2_S6_PT0_lS8_lT1_lS6_lS6_.uses_flat_scratch, 0
	.set _ZN9rocsolver6v33100L11lasr_kernelIddPdiEEv13rocblas_side_14rocblas_pivot_15rocblas_direct_T2_S6_PT0_lS8_lT1_lS6_lS6_.has_dyn_sized_stack, 0
	.set _ZN9rocsolver6v33100L11lasr_kernelIddPdiEEv13rocblas_side_14rocblas_pivot_15rocblas_direct_T2_S6_PT0_lS8_lT1_lS6_lS6_.has_recursion, 0
	.set _ZN9rocsolver6v33100L11lasr_kernelIddPdiEEv13rocblas_side_14rocblas_pivot_15rocblas_direct_T2_S6_PT0_lS8_lT1_lS6_lS6_.has_indirect_call, 0
	.section	.AMDGPU.csdata,"",@progbits
; Kernel info:
; codeLenInByte = 4928
; TotalNumSgprs: 91
; NumVgprs: 45
; ScratchSize: 0
; MemoryBound: 0
; FloatMode: 240
; IeeeMode: 1
; LDSByteSize: 0 bytes/workgroup (compile time only)
; SGPRBlocks: 0
; VGPRBlocks: 5
; NumSGPRsForWavesPerEU: 91
; NumVGPRsForWavesPerEU: 45
; Occupancy: 16
; WaveLimiterHint : 0
; COMPUTE_PGM_RSRC2:SCRATCH_EN: 0
; COMPUTE_PGM_RSRC2:USER_SGPR: 6
; COMPUTE_PGM_RSRC2:TRAP_HANDLER: 0
; COMPUTE_PGM_RSRC2:TGID_X_EN: 1
; COMPUTE_PGM_RSRC2:TGID_Y_EN: 0
; COMPUTE_PGM_RSRC2:TGID_Z_EN: 1
; COMPUTE_PGM_RSRC2:TIDIG_COMP_CNT: 0
	.section	.text._ZN9rocsolver6v33100L11scal_kernelIddiEEvT1_T_PT0_S2_,"axG",@progbits,_ZN9rocsolver6v33100L11scal_kernelIddiEEvT1_T_PT0_S2_,comdat
	.globl	_ZN9rocsolver6v33100L11scal_kernelIddiEEvT1_T_PT0_S2_ ; -- Begin function _ZN9rocsolver6v33100L11scal_kernelIddiEEvT1_T_PT0_S2_
	.p2align	8
	.type	_ZN9rocsolver6v33100L11scal_kernelIddiEEvT1_T_PT0_S2_,@function
_ZN9rocsolver6v33100L11scal_kernelIddiEEvT1_T_PT0_S2_: ; @_ZN9rocsolver6v33100L11scal_kernelIddiEEvT1_T_PT0_S2_
; %bb.0:
	s_load_dword s7, s[4:5], 0x0
	s_waitcnt lgkmcnt(0)
	s_cmp_lt_i32 s7, 1
	s_cbranch_scc1 .LBB18_10
; %bb.1:
	s_clause 0x3
	s_load_dword s0, s[4:5], 0x2c
	s_load_dword s2, s[4:5], 0x20
	;; [unrolled: 1-line block ×3, first 2 shown]
	s_load_dwordx4 s[8:11], s[4:5], 0x8
	s_waitcnt lgkmcnt(0)
	s_and_b32 s3, s0, 0xffff
	v_mad_u64_u32 v[0:1], null, s6, s3, v[0:1]
	s_mul_i32 s2, s2, s3
	s_cmp_eq_u32 s1, 1
	s_mov_b32 s3, -1
	v_cmp_gt_i32_e64 s0, s7, v0
	s_cbranch_scc1 .LBB18_6
; %bb.2:
	s_and_saveexec_b32 s3, s0
	s_cbranch_execz .LBB18_5
; %bb.3:
	v_mad_i64_i32 v[1:2], null, s1, v0, 0
	v_mov_b32_e32 v3, v0
	s_mul_hi_i32 s5, s1, s2
	s_mul_i32 s4, s1, s2
	s_mov_b32 s6, 0
	s_lshl_b64 s[4:5], s[4:5], 3
	v_lshlrev_b64 v[1:2], 3, v[1:2]
	v_add_co_u32 v1, vcc_lo, s10, v1
	v_add_co_ci_u32_e64 v2, null, s11, v2, vcc_lo
.LBB18_4:                               ; =>This Inner Loop Header: Depth=1
	global_load_dwordx2 v[4:5], v[1:2], off
	v_add_nc_u32_e32 v3, s2, v3
	v_cmp_le_i32_e32 vcc_lo, s7, v3
	s_or_b32 s6, vcc_lo, s6
	s_waitcnt vmcnt(0)
	v_mul_f64 v[4:5], s[8:9], v[4:5]
	global_store_dwordx2 v[1:2], v[4:5], off
	v_add_co_u32 v1, s1, v1, s4
	v_add_co_ci_u32_e64 v2, null, s5, v2, s1
	s_andn2_b32 exec_lo, exec_lo, s6
	s_cbranch_execnz .LBB18_4
.LBB18_5:
	s_or_b32 exec_lo, exec_lo, s3
	s_mov_b32 s3, 0
.LBB18_6:
	s_andn2_b32 vcc_lo, exec_lo, s3
	s_cbranch_vccnz .LBB18_10
; %bb.7:
	s_and_saveexec_b32 s1, s0
	s_cbranch_execz .LBB18_10
; %bb.8:
	v_ashrrev_i32_e32 v1, 31, v0
	s_ashr_i32 s3, s2, 31
	s_mov_b32 s1, 0
	s_lshl_b64 s[4:5], s[2:3], 3
	v_lshlrev_b64 v[1:2], 3, v[0:1]
	v_add_co_u32 v1, vcc_lo, s10, v1
	v_add_co_ci_u32_e64 v2, null, s11, v2, vcc_lo
.LBB18_9:                               ; =>This Inner Loop Header: Depth=1
	global_load_dwordx2 v[3:4], v[1:2], off
	v_add_nc_u32_e32 v0, s2, v0
	v_cmp_le_i32_e32 vcc_lo, s7, v0
	s_or_b32 s1, vcc_lo, s1
	s_waitcnt vmcnt(0)
	v_mul_f64 v[3:4], s[8:9], v[3:4]
	global_store_dwordx2 v[1:2], v[3:4], off
	v_add_co_u32 v1, s0, v1, s4
	v_add_co_ci_u32_e64 v2, null, s5, v2, s0
	s_andn2_b32 exec_lo, exec_lo, s1
	s_cbranch_execnz .LBB18_9
.LBB18_10:
	s_endpgm
	.section	.rodata,"a",@progbits
	.p2align	6, 0x0
	.amdhsa_kernel _ZN9rocsolver6v33100L11scal_kernelIddiEEvT1_T_PT0_S2_
		.amdhsa_group_segment_fixed_size 0
		.amdhsa_private_segment_fixed_size 0
		.amdhsa_kernarg_size 288
		.amdhsa_user_sgpr_count 6
		.amdhsa_user_sgpr_private_segment_buffer 1
		.amdhsa_user_sgpr_dispatch_ptr 0
		.amdhsa_user_sgpr_queue_ptr 0
		.amdhsa_user_sgpr_kernarg_segment_ptr 1
		.amdhsa_user_sgpr_dispatch_id 0
		.amdhsa_user_sgpr_flat_scratch_init 0
		.amdhsa_user_sgpr_private_segment_size 0
		.amdhsa_wavefront_size32 1
		.amdhsa_uses_dynamic_stack 0
		.amdhsa_system_sgpr_private_segment_wavefront_offset 0
		.amdhsa_system_sgpr_workgroup_id_x 1
		.amdhsa_system_sgpr_workgroup_id_y 0
		.amdhsa_system_sgpr_workgroup_id_z 0
		.amdhsa_system_sgpr_workgroup_info 0
		.amdhsa_system_vgpr_workitem_id 0
		.amdhsa_next_free_vgpr 6
		.amdhsa_next_free_sgpr 12
		.amdhsa_reserve_vcc 1
		.amdhsa_reserve_flat_scratch 0
		.amdhsa_float_round_mode_32 0
		.amdhsa_float_round_mode_16_64 0
		.amdhsa_float_denorm_mode_32 3
		.amdhsa_float_denorm_mode_16_64 3
		.amdhsa_dx10_clamp 1
		.amdhsa_ieee_mode 1
		.amdhsa_fp16_overflow 0
		.amdhsa_workgroup_processor_mode 1
		.amdhsa_memory_ordered 1
		.amdhsa_forward_progress 1
		.amdhsa_shared_vgpr_count 0
		.amdhsa_exception_fp_ieee_invalid_op 0
		.amdhsa_exception_fp_denorm_src 0
		.amdhsa_exception_fp_ieee_div_zero 0
		.amdhsa_exception_fp_ieee_overflow 0
		.amdhsa_exception_fp_ieee_underflow 0
		.amdhsa_exception_fp_ieee_inexact 0
		.amdhsa_exception_int_div_zero 0
	.end_amdhsa_kernel
	.section	.text._ZN9rocsolver6v33100L11scal_kernelIddiEEvT1_T_PT0_S2_,"axG",@progbits,_ZN9rocsolver6v33100L11scal_kernelIddiEEvT1_T_PT0_S2_,comdat
.Lfunc_end18:
	.size	_ZN9rocsolver6v33100L11scal_kernelIddiEEvT1_T_PT0_S2_, .Lfunc_end18-_ZN9rocsolver6v33100L11scal_kernelIddiEEvT1_T_PT0_S2_
                                        ; -- End function
	.set _ZN9rocsolver6v33100L11scal_kernelIddiEEvT1_T_PT0_S2_.num_vgpr, 6
	.set _ZN9rocsolver6v33100L11scal_kernelIddiEEvT1_T_PT0_S2_.num_agpr, 0
	.set _ZN9rocsolver6v33100L11scal_kernelIddiEEvT1_T_PT0_S2_.numbered_sgpr, 12
	.set _ZN9rocsolver6v33100L11scal_kernelIddiEEvT1_T_PT0_S2_.num_named_barrier, 0
	.set _ZN9rocsolver6v33100L11scal_kernelIddiEEvT1_T_PT0_S2_.private_seg_size, 0
	.set _ZN9rocsolver6v33100L11scal_kernelIddiEEvT1_T_PT0_S2_.uses_vcc, 1
	.set _ZN9rocsolver6v33100L11scal_kernelIddiEEvT1_T_PT0_S2_.uses_flat_scratch, 0
	.set _ZN9rocsolver6v33100L11scal_kernelIddiEEvT1_T_PT0_S2_.has_dyn_sized_stack, 0
	.set _ZN9rocsolver6v33100L11scal_kernelIddiEEvT1_T_PT0_S2_.has_recursion, 0
	.set _ZN9rocsolver6v33100L11scal_kernelIddiEEvT1_T_PT0_S2_.has_indirect_call, 0
	.section	.AMDGPU.csdata,"",@progbits
; Kernel info:
; codeLenInByte = 356
; TotalNumSgprs: 14
; NumVgprs: 6
; ScratchSize: 0
; MemoryBound: 0
; FloatMode: 240
; IeeeMode: 1
; LDSByteSize: 0 bytes/workgroup (compile time only)
; SGPRBlocks: 0
; VGPRBlocks: 0
; NumSGPRsForWavesPerEU: 14
; NumVGPRsForWavesPerEU: 6
; Occupancy: 16
; WaveLimiterHint : 0
; COMPUTE_PGM_RSRC2:SCRATCH_EN: 0
; COMPUTE_PGM_RSRC2:USER_SGPR: 6
; COMPUTE_PGM_RSRC2:TRAP_HANDLER: 0
; COMPUTE_PGM_RSRC2:TGID_X_EN: 1
; COMPUTE_PGM_RSRC2:TGID_Y_EN: 0
; COMPUTE_PGM_RSRC2:TGID_Z_EN: 0
; COMPUTE_PGM_RSRC2:TIDIG_COMP_CNT: 0
	.section	.text._ZN9rocsolver6v33100L17bdsqr_lower2upperIddPdS2_EEviiiPT0_lS4_lT1_iilT2_iilPiS4_lS7_,"axG",@progbits,_ZN9rocsolver6v33100L17bdsqr_lower2upperIddPdS2_EEviiiPT0_lS4_lT1_iilT2_iilPiS4_lS7_,comdat
	.globl	_ZN9rocsolver6v33100L17bdsqr_lower2upperIddPdS2_EEviiiPT0_lS4_lT1_iilT2_iilPiS4_lS7_ ; -- Begin function _ZN9rocsolver6v33100L17bdsqr_lower2upperIddPdS2_EEviiiPT0_lS4_lT1_iilT2_iilPiS4_lS7_
	.p2align	8
	.type	_ZN9rocsolver6v33100L17bdsqr_lower2upperIddPdS2_EEviiiPT0_lS4_lT1_iilT2_iilPiS4_lS7_,@function
_ZN9rocsolver6v33100L17bdsqr_lower2upperIddPdS2_EEviiiPT0_lS4_lT1_iilT2_iilPiS4_lS7_: ; @_ZN9rocsolver6v33100L17bdsqr_lower2upperIddPdS2_EEviiiPT0_lS4_lT1_iilT2_iilPiS4_lS7_
; %bb.0:
	s_load_dwordx2 s[0:1], s[4:5], 0x78
	s_mov_b32 s28, s7
	s_ashr_i32 s29, s7, 31
	s_lshl_b64 s[2:3], s[28:29], 2
	s_waitcnt lgkmcnt(0)
	s_add_u32 s0, s0, s2
	s_addc_u32 s1, s1, s3
	s_load_dword s0, s[0:1], 0x8
	s_waitcnt lgkmcnt(0)
	s_cmp_lg_u32 s0, 0
	s_cbranch_scc1 .LBB19_34
; %bb.1:
	s_clause 0x1
	s_load_dwordx8 s[8:15], s[4:5], 0x30
	s_load_dwordx4 s[24:27], s[4:5], 0x68
	s_mov_b64 s[2:3], 0
	s_mov_b64 s[6:7], 0
	s_waitcnt lgkmcnt(0)
	s_cmp_eq_u64 s[8:9], 0
	s_cbranch_scc1 .LBB19_3
; %bb.2:
	s_mul_i32 s0, s12, s29
	s_mul_hi_u32 s1, s12, s28
	s_mul_i32 s6, s13, s28
	s_add_i32 s0, s1, s0
	s_ashr_i32 s7, s10, 31
	s_add_i32 s1, s0, s6
	s_mul_i32 s0, s12, s28
	s_mov_b32 s6, s10
	s_lshl_b64 s[0:1], s[0:1], 3
	s_add_u32 s8, s8, s0
	s_addc_u32 s9, s9, s1
	s_lshl_b64 s[0:1], s[6:7], 3
	s_add_u32 s6, s8, s0
	s_addc_u32 s7, s9, s1
.LBB19_3:
	s_load_dwordx2 s[0:1], s[4:5], 0x50
	s_cmp_eq_u64 s[14:15], 0
	s_cbranch_scc1 .LBB19_5
; %bb.4:
	s_load_dwordx2 s[2:3], s[4:5], 0x58
	s_waitcnt lgkmcnt(0)
	s_mul_i32 s8, s2, s29
	s_mul_hi_u32 s9, s2, s28
	s_mul_i32 s3, s3, s28
	s_add_i32 s8, s9, s8
	s_mul_i32 s2, s2, s28
	s_add_i32 s3, s8, s3
	s_ashr_i32 s9, s0, 31
	s_lshl_b64 s[2:3], s[2:3], 3
	s_mov_b32 s8, s0
	s_add_u32 s0, s14, s2
	s_addc_u32 s10, s15, s3
	s_lshl_b64 s[2:3], s[8:9], 3
	s_add_u32 s2, s0, s2
	s_addc_u32 s3, s10, s3
.LBB19_5:
	s_load_dwordx4 s[20:23], s[4:5], 0x0
	s_waitcnt lgkmcnt(0)
	s_mul_i32 s0, s26, s29
	s_mul_hi_u32 s8, s26, s28
	s_add_i32 s0, s8, s0
	s_mul_i32 s8, s27, s28
	s_add_i32 s9, s0, s8
	s_mul_i32 s8, s26, s28
	s_mov_b32 s0, exec_lo
	v_cmpx_eq_u32_e32 0, v0
	s_cbranch_execz .LBB19_22
; %bb.6:
	s_load_dwordx8 s[12:19], s[4:5], 0x10
	s_waitcnt lgkmcnt(0)
	s_mul_i32 s10, s14, s29
	s_mul_hi_u32 s23, s14, s28
	s_mul_i32 s15, s15, s28
	s_add_i32 s10, s23, s10
	s_mul_i32 s14, s14, s28
	s_add_i32 s15, s10, s15
	s_lshl_b64 s[30:31], s[14:15], 3
	s_add_u32 s14, s12, s30
	s_addc_u32 s15, s13, s31
	s_add_i32 s26, s20, -1
	s_load_dwordx2 s[34:35], s[14:15], 0x0
	s_cmp_lt_i32 s20, 2
	s_waitcnt lgkmcnt(0)
	v_mov_b32_e32 v1, s34
	v_mov_b32_e32 v2, s35
	s_cbranch_scc1 .LBB19_21
; %bb.7:
	s_lshl_b64 s[36:37], s[8:9], 3
	s_mul_i32 s27, s18, s29
	s_mul_hi_u32 s29, s18, s28
	s_add_u32 s10, s24, s36
	s_addc_u32 s23, s25, s37
	s_add_i32 s27, s29, s27
	s_mul_i32 s19, s19, s28
	s_mul_i32 s18, s18, s28
	s_add_i32 s19, s27, s19
	v_mov_b32_e32 v1, s34
	s_lshl_b64 s[18:19], s[18:19], 3
	v_mov_b32_e32 v2, s35
	s_add_u32 s28, s16, s18
	s_addc_u32 s29, s17, s19
	s_or_b32 s16, s22, s21
	s_load_dwordx2 s[36:37], s[28:29], 0x0
	s_cmp_lg_u32 s16, 0
	v_mov_b32_e32 v9, 0
	s_cselect_b32 s27, -1, 0
	s_add_u32 s18, s10, 32
	s_addc_u32 s19, s23, 0
	s_add_u32 s12, s12, s30
	s_addc_u32 s13, s13, s31
	;; [unrolled: 2-line block ×3, first 2 shown]
	s_add_u32 s28, s28, 8
	s_mov_b32 s17, 0
	s_addc_u32 s29, s29, 0
	s_mov_b32 s30, 0
	s_waitcnt lgkmcnt(0)
	v_mov_b32_e32 v3, s36
	v_mov_b32_e32 v4, s37
	s_branch .LBB19_9
.LBB19_8:                               ;   in Loop: Header=BB19_9 Depth=1
	s_waitcnt vmcnt(0)
	v_mul_f64 v[1:2], v[5:6], v[1:2]
	s_add_i32 s30, s30, 1
	s_add_u32 s18, s18, 8
	s_addc_u32 s19, s19, 0
	s_add_u32 s12, s12, 8
	s_addc_u32 s13, s13, 0
	;; [unrolled: 2-line block ×3, first 2 shown]
	s_cmp_lg_u32 s26, s30
	s_cbranch_scc0 .LBB19_21
.LBB19_9:                               ; =>This Inner Loop Header: Depth=1
	v_cmp_eq_f64_e32 vcc_lo, 0, v[3:4]
	s_cbranch_vccnz .LBB19_13
; %bb.10:                               ;   in Loop: Header=BB19_9 Depth=1
	v_cmp_neq_f64_e32 vcc_lo, 0, v[1:2]
	s_cbranch_vccz .LBB19_14
; %bb.11:                               ;   in Loop: Header=BB19_9 Depth=1
	v_cmp_ngt_f64_e64 s16, |v[3:4]|, |v[1:2]|
	s_and_b32 vcc_lo, exec_lo, s16
	s_cbranch_vccz .LBB19_15
; %bb.12:                               ;   in Loop: Header=BB19_9 Depth=1
	v_div_scale_f64 v[5:6], null, v[1:2], v[1:2], -v[3:4]
	v_div_scale_f64 v[12:13], vcc_lo, -v[3:4], v[1:2], -v[3:4]
	v_rcp_f64_e32 v[7:8], v[5:6]
	v_fma_f64 v[10:11], -v[5:6], v[7:8], 1.0
	v_fma_f64 v[7:8], v[7:8], v[10:11], v[7:8]
	v_fma_f64 v[10:11], -v[5:6], v[7:8], 1.0
	v_fma_f64 v[7:8], v[7:8], v[10:11], v[7:8]
	v_mul_f64 v[10:11], v[12:13], v[7:8]
	v_fma_f64 v[5:6], -v[5:6], v[10:11], v[12:13]
	v_div_fmas_f64 v[5:6], v[5:6], v[7:8], v[10:11]
	v_div_fixup_f64 v[7:8], v[5:6], v[1:2], -v[3:4]
	v_fma_f64 v[5:6], v[7:8], v[7:8], 1.0
	v_cmp_gt_f64_e32 vcc_lo, 0x10000000, v[5:6]
	s_and_b32 s16, vcc_lo, exec_lo
	s_cselect_b32 s16, 0x100, 0
	v_ldexp_f64 v[5:6], v[5:6], s16
	s_cselect_b32 s16, 0xffffff80, 0
	v_rsq_f64_e32 v[10:11], v[5:6]
	v_cmp_class_f64_e64 vcc_lo, v[5:6], 0x260
	v_mul_f64 v[12:13], v[5:6], v[10:11]
	v_mul_f64 v[10:11], v[10:11], 0.5
	v_fma_f64 v[14:15], -v[10:11], v[12:13], 0.5
	v_fma_f64 v[12:13], v[12:13], v[14:15], v[12:13]
	v_fma_f64 v[10:11], v[10:11], v[14:15], v[10:11]
	v_fma_f64 v[14:15], -v[12:13], v[12:13], v[5:6]
	v_fma_f64 v[12:13], v[14:15], v[10:11], v[12:13]
	v_fma_f64 v[14:15], -v[12:13], v[12:13], v[5:6]
	v_fma_f64 v[10:11], v[14:15], v[10:11], v[12:13]
	v_ldexp_f64 v[10:11], v[10:11], s16
	v_cndmask_b32_e32 v6, v11, v6, vcc_lo
	v_cndmask_b32_e32 v5, v10, v5, vcc_lo
	v_div_scale_f64 v[10:11], null, v[5:6], v[5:6], 1.0
	v_rcp_f64_e32 v[12:13], v[10:11]
	v_fma_f64 v[14:15], -v[10:11], v[12:13], 1.0
	v_fma_f64 v[12:13], v[12:13], v[14:15], v[12:13]
	v_fma_f64 v[14:15], -v[10:11], v[12:13], 1.0
	v_fma_f64 v[12:13], v[12:13], v[14:15], v[12:13]
	v_div_scale_f64 v[14:15], vcc_lo, 1.0, v[5:6], 1.0
	v_mul_f64 v[16:17], v[14:15], v[12:13]
	v_fma_f64 v[10:11], -v[10:11], v[16:17], v[14:15]
	v_div_fmas_f64 v[10:11], v[10:11], v[12:13], v[16:17]
	v_div_fixup_f64 v[5:6], v[10:11], v[5:6], 1.0
	v_mul_f64 v[7:8], v[7:8], v[5:6]
	s_cbranch_execz .LBB19_16
	s_branch .LBB19_17
.LBB19_13:                              ;   in Loop: Header=BB19_9 Depth=1
	v_mov_b32_e32 v5, 0
	v_mov_b32_e32 v7, 0
	;; [unrolled: 1-line block ×4, first 2 shown]
	s_branch .LBB19_19
.LBB19_14:                              ;   in Loop: Header=BB19_9 Depth=1
	v_xor_b32_e32 v4, 0x80000000, v4
	v_mov_b32_e32 v1, v3
                                        ; implicit-def: $vgpr7_vgpr8
                                        ; implicit-def: $vgpr5_vgpr6
	v_mov_b32_e32 v2, v4
	s_cbranch_execnz .LBB19_18
	s_branch .LBB19_19
.LBB19_15:                              ;   in Loop: Header=BB19_9 Depth=1
                                        ; implicit-def: $vgpr7_vgpr8
                                        ; implicit-def: $vgpr5_vgpr6
.LBB19_16:                              ;   in Loop: Header=BB19_9 Depth=1
	v_div_scale_f64 v[5:6], null, v[3:4], v[3:4], -v[1:2]
	v_div_scale_f64 v[12:13], vcc_lo, -v[1:2], v[3:4], -v[1:2]
	v_rcp_f64_e32 v[7:8], v[5:6]
	v_fma_f64 v[10:11], -v[5:6], v[7:8], 1.0
	v_fma_f64 v[7:8], v[7:8], v[10:11], v[7:8]
	v_fma_f64 v[10:11], -v[5:6], v[7:8], 1.0
	v_fma_f64 v[7:8], v[7:8], v[10:11], v[7:8]
	v_mul_f64 v[10:11], v[12:13], v[7:8]
	v_fma_f64 v[5:6], -v[5:6], v[10:11], v[12:13]
	v_div_fmas_f64 v[5:6], v[5:6], v[7:8], v[10:11]
	v_div_fixup_f64 v[5:6], v[5:6], v[3:4], -v[1:2]
	v_fma_f64 v[7:8], v[5:6], v[5:6], 1.0
	v_cmp_gt_f64_e32 vcc_lo, 0x10000000, v[7:8]
	s_and_b32 s16, vcc_lo, exec_lo
	s_cselect_b32 s16, 0x100, 0
	v_ldexp_f64 v[7:8], v[7:8], s16
	s_cselect_b32 s16, 0xffffff80, 0
	v_rsq_f64_e32 v[10:11], v[7:8]
	v_cmp_class_f64_e64 vcc_lo, v[7:8], 0x260
	v_mul_f64 v[12:13], v[7:8], v[10:11]
	v_mul_f64 v[10:11], v[10:11], 0.5
	v_fma_f64 v[14:15], -v[10:11], v[12:13], 0.5
	v_fma_f64 v[12:13], v[12:13], v[14:15], v[12:13]
	v_fma_f64 v[10:11], v[10:11], v[14:15], v[10:11]
	v_fma_f64 v[14:15], -v[12:13], v[12:13], v[7:8]
	v_fma_f64 v[12:13], v[14:15], v[10:11], v[12:13]
	v_fma_f64 v[14:15], -v[12:13], v[12:13], v[7:8]
	v_fma_f64 v[10:11], v[14:15], v[10:11], v[12:13]
	v_ldexp_f64 v[10:11], v[10:11], s16
	v_cndmask_b32_e32 v8, v11, v8, vcc_lo
	v_cndmask_b32_e32 v7, v10, v7, vcc_lo
	v_div_scale_f64 v[10:11], null, v[7:8], v[7:8], 1.0
	v_rcp_f64_e32 v[12:13], v[10:11]
	v_fma_f64 v[14:15], -v[10:11], v[12:13], 1.0
	v_fma_f64 v[12:13], v[12:13], v[14:15], v[12:13]
	v_fma_f64 v[14:15], -v[10:11], v[12:13], 1.0
	v_fma_f64 v[12:13], v[12:13], v[14:15], v[12:13]
	v_div_scale_f64 v[14:15], vcc_lo, 1.0, v[7:8], 1.0
	v_mul_f64 v[16:17], v[14:15], v[12:13]
	v_fma_f64 v[10:11], -v[10:11], v[16:17], v[14:15]
	v_div_fmas_f64 v[10:11], v[10:11], v[12:13], v[16:17]
	v_div_fixup_f64 v[7:8], v[10:11], v[7:8], 1.0
	v_mul_f64 v[5:6], v[5:6], v[7:8]
.LBB19_17:                              ;   in Loop: Header=BB19_9 Depth=1
	v_mul_f64 v[3:4], v[3:4], v[7:8]
	v_fma_f64 v[1:2], v[1:2], v[5:6], -v[3:4]
	s_branch .LBB19_19
.LBB19_18:                              ;   in Loop: Header=BB19_9 Depth=1
	v_mov_b32_e32 v5, 0
	v_mov_b32_e32 v7, 0
	v_mov_b32_e32 v6, 0
	v_mov_b32_e32 v8, 0x3ff00000
.LBB19_19:                              ;   in Loop: Header=BB19_9 Depth=1
	global_load_dwordx2 v[10:11], v9, s[12:13]
	global_store_dwordx2 v9, v[1:2], s[12:13] offset:-8
	global_load_dwordx2 v[3:4], v9, s[28:29]
	s_andn2_b32 vcc_lo, exec_lo, s27
	s_waitcnt vmcnt(1)
	v_mul_f64 v[1:2], v[10:11], -v[7:8]
	global_store_dwordx2 v9, v[1:2], s[28:29] offset:-8
	global_load_dwordx2 v[1:2], v9, s[12:13]
	s_cbranch_vccnz .LBB19_8
; %bb.20:                               ;   in Loop: Header=BB19_9 Depth=1
	s_add_i32 s16, s20, s30
	s_lshl_b64 s[34:35], s[16:17], 3
	s_add_u32 s34, s10, s34
	s_addc_u32 s35, s23, s35
	global_store_dwordx2 v9, v[5:6], s[18:19]
	global_store_dwordx2 v9, v[7:8], s[34:35] offset:32
	s_branch .LBB19_8
.LBB19_21:
	s_ashr_i32 s27, s26, 31
	v_mov_b32_e32 v3, 0
	s_lshl_b64 s[12:13], s[26:27], 3
	s_add_u32 s12, s14, s12
	s_addc_u32 s13, s15, s13
	global_store_dwordx2 v3, v[1:2], s[12:13]
.LBB19_22:
	s_or_b32 exec_lo, exec_lo, s0
	s_mov_b32 s23, exec_lo
	s_waitcnt_vscnt null, 0x0
	s_barrier
	buffer_gl0_inv
	v_cmpx_gt_i32_e64 s21, v0
	s_cbranch_execz .LBB19_28
; %bb.23:
	s_load_dword s0, s[4:5], 0x8c
	s_add_i32 s28, s20, -1
	s_cmp_gt_i32 s20, 1
	s_mov_b32 s14, s11
	s_mov_b32 s13, 0
	;; [unrolled: 1-line block ×3, first 2 shown]
	s_mul_i32 s18, s11, s28
	s_cselect_b32 s29, -1, 0
	s_ashr_i32 s15, s11, 31
	s_lshl_b64 s[16:17], s[8:9], 3
	s_lshl_b64 s[10:11], s[12:13], 3
	s_ashr_i32 s19, s18, 31
	s_lshl_b64 s[14:15], s[14:15], 3
	v_mov_b32_e32 v8, 0
	v_mov_b32_e32 v1, v0
	s_waitcnt lgkmcnt(0)
	s_and_b32 s12, s0, 0xffff
	s_add_u32 s0, s24, s16
	s_addc_u32 s17, s25, s17
	s_add_u32 s16, s0, 32
	s_addc_u32 s17, s17, 0
	s_lshl_b64 s[18:19], s[18:19], 3
	s_branch .LBB19_25
.LBB19_24:                              ;   in Loop: Header=BB19_25 Depth=1
	v_add_nc_u32_e32 v1, s12, v1
	v_add_co_u32 v2, s0, v2, s18
	v_add_co_ci_u32_e64 v3, null, s19, v3, s0
	v_cmp_le_i32_e32 vcc_lo, s21, v1
	s_waitcnt vmcnt(0)
	global_store_dwordx2 v[2:3], v[4:5], off
	s_or_b32 s13, vcc_lo, s13
	s_andn2_b32 exec_lo, exec_lo, s13
	s_cbranch_execz .LBB19_28
.LBB19_25:                              ; =>This Loop Header: Depth=1
                                        ;     Child Loop BB19_27 Depth 2
	v_ashrrev_i32_e32 v2, 31, v1
	v_lshlrev_b64 v[2:3], 3, v[1:2]
	v_add_co_u32 v2, vcc_lo, s6, v2
	v_add_co_ci_u32_e64 v3, null, s7, v3, vcc_lo
	s_andn2_b32 vcc_lo, exec_lo, s29
	global_load_dwordx2 v[4:5], v[2:3], off
	s_cbranch_vccnz .LBB19_24
; %bb.26:                               ;   in Loop: Header=BB19_25 Depth=1
	v_mov_b32_e32 v7, v3
	v_mov_b32_e32 v6, v2
	s_mov_b32 s0, s28
	s_mov_b64 s[26:27], s[16:17]
	.p2align	6
.LBB19_27:                              ;   Parent Loop BB19_25 Depth=1
                                        ; =>  This Inner Loop Header: Depth=2
	v_add_co_u32 v9, vcc_lo, v6, s14
	v_add_co_ci_u32_e64 v10, null, s15, v7, vcc_lo
	s_add_u32 s30, s26, s10
	s_addc_u32 s31, s27, s11
	global_load_dwordx2 v[11:12], v[9:10], off
	s_clause 0x1
	global_load_dwordx2 v[13:14], v8, s[30:31]
	global_load_dwordx2 v[15:16], v8, s[26:27]
	s_add_u32 s26, s26, 8
	s_addc_u32 s27, s27, 0
	s_add_i32 s0, s0, -1
	s_cmp_lg_u32 s0, 0
	s_waitcnt vmcnt(1)
	v_mul_f64 v[17:18], v[11:12], v[13:14]
	v_mul_f64 v[13:14], v[4:5], v[13:14]
	s_waitcnt vmcnt(0)
	v_fma_f64 v[17:18], v[4:5], v[15:16], -v[17:18]
	v_fma_f64 v[4:5], v[11:12], v[15:16], v[13:14]
	global_store_dwordx2 v[6:7], v[17:18], off
	v_mov_b32_e32 v6, v9
	v_mov_b32_e32 v7, v10
	s_cbranch_scc1 .LBB19_27
	s_branch .LBB19_24
.LBB19_28:
	s_or_b32 exec_lo, exec_lo, s23
	s_mov_b32 s0, exec_lo
	v_cmpx_gt_i32_e64 s22, v0
	s_cbranch_execz .LBB19_34
; %bb.29:
	s_load_dword s0, s[4:5], 0x8c
	s_add_i32 s4, s20, -1
	s_cmp_gt_i32 s20, 1
	v_mul_lo_u32 v1, v0, s1
	s_cselect_b32 s14, -1, 0
	s_lshl_b64 s[6:7], s[8:9], 3
	s_ashr_i32 s5, s4, 31
	v_mov_b32_e32 v9, 0
	s_mov_b32 s21, 0
	s_waitcnt lgkmcnt(0)
	s_and_b32 s15, s0, 0xffff
	s_add_u32 s0, s24, s6
	s_addc_u32 s7, s25, s7
	s_add_u32 s6, s0, 32
	s_addc_u32 s7, s7, 0
	s_add_u32 s17, s2, 8
	s_mul_i32 s16, s1, s15
	s_addc_u32 s18, s3, 0
	s_lshl_b64 s[8:9], s[20:21], 3
	s_lshl_b64 s[10:11], s[4:5], 3
	s_branch .LBB19_31
.LBB19_30:                              ;   in Loop: Header=BB19_31 Depth=1
	v_add_nc_u32_e32 v0, s15, v0
	v_add_co_u32 v2, s0, v3, s10
	v_add_co_ci_u32_e64 v3, null, s11, v4, s0
	v_cmp_le_i32_e32 vcc_lo, s22, v0
	v_add_nc_u32_e32 v1, s16, v1
	s_waitcnt vmcnt(0)
	global_store_dwordx2 v[2:3], v[5:6], off
	s_or_b32 s21, vcc_lo, s21
	s_andn2_b32 exec_lo, exec_lo, s21
	s_cbranch_execz .LBB19_34
.LBB19_31:                              ; =>This Loop Header: Depth=1
                                        ;     Child Loop BB19_33 Depth 2
	v_mul_lo_u32 v2, v0, s1
	v_ashrrev_i32_e32 v3, 31, v2
	v_lshlrev_b64 v[3:4], 3, v[2:3]
	v_add_co_u32 v3, vcc_lo, s2, v3
	v_add_co_ci_u32_e64 v4, null, s3, v4, vcc_lo
	s_andn2_b32 vcc_lo, exec_lo, s14
	global_load_dwordx2 v[5:6], v[3:4], off
	s_cbranch_vccnz .LBB19_30
; %bb.32:                               ;   in Loop: Header=BB19_31 Depth=1
	v_ashrrev_i32_e32 v2, 31, v1
	s_mov_b32 s0, s4
	s_mov_b64 s[12:13], s[6:7]
	v_lshlrev_b64 v[7:8], 3, v[1:2]
	v_add_co_u32 v7, vcc_lo, s17, v7
	v_add_co_ci_u32_e64 v8, null, s18, v8, vcc_lo
	.p2align	6
.LBB19_33:                              ;   Parent Loop BB19_31 Depth=1
                                        ; =>  This Inner Loop Header: Depth=2
	s_add_u32 s24, s12, s8
	s_addc_u32 s25, s13, s9
	global_load_dwordx2 v[10:11], v[7:8], off
	s_clause 0x1
	global_load_dwordx2 v[12:13], v9, s[12:13]
	global_load_dwordx2 v[14:15], v9, s[24:25]
	s_add_u32 s12, s12, 8
	s_addc_u32 s13, s13, 0
	s_add_i32 s0, s0, -1
	s_cmp_lg_u32 s0, 0
	s_waitcnt vmcnt(0)
	v_mul_f64 v[16:17], v[10:11], v[14:15]
	v_mul_f64 v[14:15], v[5:6], v[14:15]
	v_fma_f64 v[16:17], v[5:6], v[12:13], -v[16:17]
	v_fma_f64 v[5:6], v[10:11], v[12:13], v[14:15]
	global_store_dwordx2 v[7:8], v[16:17], off offset:-8
	v_add_co_u32 v7, vcc_lo, v7, 8
	v_add_co_ci_u32_e64 v8, null, 0, v8, vcc_lo
	s_cbranch_scc1 .LBB19_33
	s_branch .LBB19_30
.LBB19_34:
	s_endpgm
	.section	.rodata,"a",@progbits
	.p2align	6, 0x0
	.amdhsa_kernel _ZN9rocsolver6v33100L17bdsqr_lower2upperIddPdS2_EEviiiPT0_lS4_lT1_iilT2_iilPiS4_lS7_
		.amdhsa_group_segment_fixed_size 0
		.amdhsa_private_segment_fixed_size 0
		.amdhsa_kernarg_size 384
		.amdhsa_user_sgpr_count 6
		.amdhsa_user_sgpr_private_segment_buffer 1
		.amdhsa_user_sgpr_dispatch_ptr 0
		.amdhsa_user_sgpr_queue_ptr 0
		.amdhsa_user_sgpr_kernarg_segment_ptr 1
		.amdhsa_user_sgpr_dispatch_id 0
		.amdhsa_user_sgpr_flat_scratch_init 0
		.amdhsa_user_sgpr_private_segment_size 0
		.amdhsa_wavefront_size32 1
		.amdhsa_uses_dynamic_stack 0
		.amdhsa_system_sgpr_private_segment_wavefront_offset 0
		.amdhsa_system_sgpr_workgroup_id_x 1
		.amdhsa_system_sgpr_workgroup_id_y 1
		.amdhsa_system_sgpr_workgroup_id_z 0
		.amdhsa_system_sgpr_workgroup_info 0
		.amdhsa_system_vgpr_workitem_id 0
		.amdhsa_next_free_vgpr 19
		.amdhsa_next_free_sgpr 38
		.amdhsa_reserve_vcc 1
		.amdhsa_reserve_flat_scratch 0
		.amdhsa_float_round_mode_32 0
		.amdhsa_float_round_mode_16_64 0
		.amdhsa_float_denorm_mode_32 3
		.amdhsa_float_denorm_mode_16_64 3
		.amdhsa_dx10_clamp 1
		.amdhsa_ieee_mode 1
		.amdhsa_fp16_overflow 0
		.amdhsa_workgroup_processor_mode 1
		.amdhsa_memory_ordered 1
		.amdhsa_forward_progress 1
		.amdhsa_shared_vgpr_count 0
		.amdhsa_exception_fp_ieee_invalid_op 0
		.amdhsa_exception_fp_denorm_src 0
		.amdhsa_exception_fp_ieee_div_zero 0
		.amdhsa_exception_fp_ieee_overflow 0
		.amdhsa_exception_fp_ieee_underflow 0
		.amdhsa_exception_fp_ieee_inexact 0
		.amdhsa_exception_int_div_zero 0
	.end_amdhsa_kernel
	.section	.text._ZN9rocsolver6v33100L17bdsqr_lower2upperIddPdS2_EEviiiPT0_lS4_lT1_iilT2_iilPiS4_lS7_,"axG",@progbits,_ZN9rocsolver6v33100L17bdsqr_lower2upperIddPdS2_EEviiiPT0_lS4_lT1_iilT2_iilPiS4_lS7_,comdat
.Lfunc_end19:
	.size	_ZN9rocsolver6v33100L17bdsqr_lower2upperIddPdS2_EEviiiPT0_lS4_lT1_iilT2_iilPiS4_lS7_, .Lfunc_end19-_ZN9rocsolver6v33100L17bdsqr_lower2upperIddPdS2_EEviiiPT0_lS4_lT1_iilT2_iilPiS4_lS7_
                                        ; -- End function
	.set _ZN9rocsolver6v33100L17bdsqr_lower2upperIddPdS2_EEviiiPT0_lS4_lT1_iilT2_iilPiS4_lS7_.num_vgpr, 19
	.set _ZN9rocsolver6v33100L17bdsqr_lower2upperIddPdS2_EEviiiPT0_lS4_lT1_iilT2_iilPiS4_lS7_.num_agpr, 0
	.set _ZN9rocsolver6v33100L17bdsqr_lower2upperIddPdS2_EEviiiPT0_lS4_lT1_iilT2_iilPiS4_lS7_.numbered_sgpr, 38
	.set _ZN9rocsolver6v33100L17bdsqr_lower2upperIddPdS2_EEviiiPT0_lS4_lT1_iilT2_iilPiS4_lS7_.num_named_barrier, 0
	.set _ZN9rocsolver6v33100L17bdsqr_lower2upperIddPdS2_EEviiiPT0_lS4_lT1_iilT2_iilPiS4_lS7_.private_seg_size, 0
	.set _ZN9rocsolver6v33100L17bdsqr_lower2upperIddPdS2_EEviiiPT0_lS4_lT1_iilT2_iilPiS4_lS7_.uses_vcc, 1
	.set _ZN9rocsolver6v33100L17bdsqr_lower2upperIddPdS2_EEviiiPT0_lS4_lT1_iilT2_iilPiS4_lS7_.uses_flat_scratch, 0
	.set _ZN9rocsolver6v33100L17bdsqr_lower2upperIddPdS2_EEviiiPT0_lS4_lT1_iilT2_iilPiS4_lS7_.has_dyn_sized_stack, 0
	.set _ZN9rocsolver6v33100L17bdsqr_lower2upperIddPdS2_EEviiiPT0_lS4_lT1_iilT2_iilPiS4_lS7_.has_recursion, 0
	.set _ZN9rocsolver6v33100L17bdsqr_lower2upperIddPdS2_EEviiiPT0_lS4_lT1_iilT2_iilPiS4_lS7_.has_indirect_call, 0
	.section	.AMDGPU.csdata,"",@progbits
; Kernel info:
; codeLenInByte = 2300
; TotalNumSgprs: 40
; NumVgprs: 19
; ScratchSize: 0
; MemoryBound: 0
; FloatMode: 240
; IeeeMode: 1
; LDSByteSize: 0 bytes/workgroup (compile time only)
; SGPRBlocks: 0
; VGPRBlocks: 2
; NumSGPRsForWavesPerEU: 40
; NumVGPRsForWavesPerEU: 19
; Occupancy: 16
; WaveLimiterHint : 0
; COMPUTE_PGM_RSRC2:SCRATCH_EN: 0
; COMPUTE_PGM_RSRC2:USER_SGPR: 6
; COMPUTE_PGM_RSRC2:TRAP_HANDLER: 0
; COMPUTE_PGM_RSRC2:TGID_X_EN: 1
; COMPUTE_PGM_RSRC2:TGID_Y_EN: 1
; COMPUTE_PGM_RSRC2:TGID_Z_EN: 0
; COMPUTE_PGM_RSRC2:TIDIG_COMP_CNT: 0
	.section	.text._ZN9rocsolver6v33100L13bdsqr_computeILi256EddPdS2_S2_EEviiiiPT1_lS4_lT2_iilT3_iilT4_iiliS3_S3_S3_S3_PiS4_ilS8_,"axG",@progbits,_ZN9rocsolver6v33100L13bdsqr_computeILi256EddPdS2_S2_EEviiiiPT1_lS4_lT2_iilT3_iilT4_iiliS3_S3_S3_S3_PiS4_ilS8_,comdat
	.globl	_ZN9rocsolver6v33100L13bdsqr_computeILi256EddPdS2_S2_EEviiiiPT1_lS4_lT2_iilT3_iilT4_iiliS3_S3_S3_S3_PiS4_ilS8_ ; -- Begin function _ZN9rocsolver6v33100L13bdsqr_computeILi256EddPdS2_S2_EEviiiiPT1_lS4_lT2_iilT3_iilT4_iiliS3_S3_S3_S3_PiS4_ilS8_
	.p2align	8
	.type	_ZN9rocsolver6v33100L13bdsqr_computeILi256EddPdS2_S2_EEviiiiPT1_lS4_lT2_iilT3_iilT4_iiliS3_S3_S3_S3_PiS4_ilS8_,@function
_ZN9rocsolver6v33100L13bdsqr_computeILi256EddPdS2_S2_EEviiiiPT1_lS4_lT2_iilT3_iilT4_iiliS3_S3_S3_S3_PiS4_ilS8_: ; @_ZN9rocsolver6v33100L13bdsqr_computeILi256EddPdS2_S2_EEviiiiPT1_lS4_lT2_iilT3_iilT4_iiliS3_S3_S3_S3_PiS4_ilS8_
; %bb.0:
	s_load_dwordx4 s[0:3], s[4:5], 0xb8
	s_ashr_i32 s9, s8, 31
	s_lshl_b64 s[10:11], s[8:9], 2
	s_waitcnt lgkmcnt(0)
	s_add_u32 s2, s2, s10
	s_addc_u32 s3, s3, s11
	s_load_dword s2, s[2:3], 0x8
	s_waitcnt lgkmcnt(0)
	s_cmp_lg_u32 s2, 0
	s_cbranch_scc1 .LBB20_172
; %bb.1:
	s_load_dwordx8 s[12:19], s[4:5], 0x30
	s_mov_b64 s[10:11], 0
	s_mov_b64 s[34:35], 0
	s_waitcnt lgkmcnt(0)
	s_cmp_eq_u64 s[12:13], 0
	s_cbranch_scc1 .LBB20_3
; %bb.2:
	s_mul_i32 s2, s16, s9
	s_mul_hi_u32 s3, s16, s8
	s_mul_i32 s6, s17, s8
	s_add_i32 s2, s3, s2
	s_ashr_i32 s17, s14, 31
	s_add_i32 s3, s2, s6
	s_mul_i32 s2, s16, s8
	s_mov_b32 s16, s14
	s_lshl_b64 s[2:3], s[2:3], 3
	s_add_u32 s6, s12, s2
	s_addc_u32 s12, s13, s3
	s_lshl_b64 s[2:3], s[16:17], 3
	s_add_u32 s34, s6, s2
	s_addc_u32 s35, s12, s3
.LBB20_3:
	s_clause 0x1
	s_load_dwordx2 s[12:13], s[4:5], 0x50
	s_load_dwordx4 s[20:23], s[4:5], 0x58
	s_cmp_eq_u64 s[18:19], 0
	s_cbranch_scc1 .LBB20_5
; %bb.4:
	s_waitcnt lgkmcnt(0)
	s_mul_i32 s2, s20, s9
	s_mul_hi_u32 s3, s20, s8
	s_mul_i32 s6, s21, s8
	s_add_i32 s2, s3, s2
	s_ashr_i32 s11, s12, 31
	s_add_i32 s3, s2, s6
	s_mul_i32 s2, s20, s8
	s_mov_b32 s10, s12
	s_lshl_b64 s[2:3], s[2:3], 3
	s_add_u32 s6, s18, s2
	s_addc_u32 s12, s19, s3
	s_lshl_b64 s[2:3], s[10:11], 3
	s_add_u32 s10, s6, s2
	s_addc_u32 s11, s12, s3
.LBB20_5:
	s_load_dwordx2 s[40:41], s[4:5], 0x68
	s_waitcnt lgkmcnt(0)
	s_cmp_eq_u64 s[22:23], 0
	s_mov_b64 s[42:43], 0
	s_cbranch_scc1 .LBB20_7
; %bb.6:
	s_load_dwordx2 s[2:3], s[4:5], 0x70
	s_ashr_i32 s17, s40, 31
	s_mov_b32 s16, s40
	s_waitcnt lgkmcnt(0)
	s_mul_i32 s6, s2, s9
	s_mul_hi_u32 s12, s2, s8
	s_mul_i32 s3, s3, s8
	s_add_i32 s6, s12, s6
	s_mul_i32 s2, s2, s8
	s_add_i32 s3, s6, s3
	s_lshl_b64 s[2:3], s[2:3], 3
	s_add_u32 s6, s22, s2
	s_addc_u32 s12, s23, s3
	s_lshl_b64 s[2:3], s[16:17], 3
	s_add_u32 s42, s6, s2
	s_addc_u32 s43, s12, s3
.LBB20_7:
	s_load_dwordx8 s[16:23], s[4:5], 0x90
	s_mul_i32 s2, s0, s9
	s_mul_hi_u32 s3, s0, s8
	s_mul_i32 s1, s1, s8
	s_add_i32 s2, s3, s2
	s_mul_i32 s0, s0, s8
	s_add_i32 s1, s2, s1
	s_lshl_b64 s[46:47], s[0:1], 3
	s_waitcnt lgkmcnt(0)
	s_add_u32 s44, s22, s46
	s_addc_u32 s45, s23, s47
	s_load_dwordx2 s[0:1], s[44:45], 0x10
	s_waitcnt lgkmcnt(0)
	v_cvt_i32_f64_e32 v13, s[0:1]
	v_cmp_ge_i32_e32 vcc_lo, s7, v13
	s_cbranch_vccnz .LBB20_172
; %bb.8:
	s_clause 0x1
	s_load_dwordx4 s[36:39], s[4:5], 0x0
	s_load_dwordx8 s[24:31], s[4:5], 0x10
	v_lshlrev_b32_e32 v14, 3, v0
                                        ; implicit-def: $vgpr32 : SGPR spill to VGPR lane
	v_mul_lo_u32 v15, v0, s15
	v_mul_lo_u32 v16, v0, s41
	v_mov_b32_e32 v1, 0
	v_mov_b32_e32 v21, 1
	s_waitcnt lgkmcnt(0)
	s_mul_i32 s0, s8, s36
	s_mul_i32 s3, s26, s9
	s_lshl_b32 s0, s0, 1
	s_mul_hi_u32 s6, s26, s8
	s_ashr_i32 s1, s0, 31
	s_mul_i32 s12, s27, s8
	s_lshl_b64 s[0:1], s[0:1], 2
	s_mul_i32 s2, s26, s8
	s_add_u32 s14, s20, s0
	s_addc_u32 s33, s21, s1
	s_add_i32 s0, s6, s3
	s_mul_i32 s6, s30, s9
	s_add_i32 s3, s0, s12
	s_mul_hi_u32 s9, s30, s8
	s_lshl_b64 s[0:1], s[2:3], 3
	s_mul_i32 s2, s31, s8
	s_add_u32 s36, s24, s0
	s_addc_u32 s40, s25, s1
	s_add_i32 s0, s9, s6
	s_mul_i32 s20, s30, s8
	s_add_i32 s21, s0, s2
	s_clause 0x1
	s_load_dword s75, s[4:5], 0x78
	s_load_dwordx2 s[8:9], s[4:5], 0x80
	s_lshl_b64 s[2:3], s[20:21], 3
	s_clause 0x1
	s_load_dword s76, s[4:5], 0xb0
	s_load_dword s77, s[4:5], 0xcc
	s_add_u32 s72, s28, s2
	s_addc_u32 s73, s29, s3
	s_cmp_lg_u32 s37, 0
	v_cmp_gt_u32_e64 s0, 0x80, v0
	s_cselect_b32 s74, -1, 0
	s_or_b32 s6, s39, s38
	v_cmp_gt_u32_e64 s1, 64, v0
	s_cmp_eq_u32 s6, 0
	v_cmp_gt_u32_e64 s2, 32, v0
	s_cselect_b32 s78, -1, 0
	s_cmp_lg_u64 s[34:35], 0
	v_cmp_eq_u32_e64 s3, 0, v0
	s_cselect_b32 s6, -1, 0
	v_cmp_gt_i32_e64 s89, s37, v0
	s_and_b32 s79, s74, s6
	s_add_u32 s26, s4, 0xc8
	s_addc_u32 s27, s5, 0
	s_cmp_lg_u64 s[10:11], 0
	s_waitcnt lgkmcnt(0)
	v_writelane_b32 v32, s8, 0
	s_cselect_b32 s4, -1, 0
	s_cmp_lg_u32 s38, 0
	v_cmp_gt_i32_e64 s88, s38, v0
	s_cselect_b32 s5, -1, 0
	v_writelane_b32 v32, s9, 1
	s_and_b32 s80, s5, s4
	s_cmp_lg_u64 s[42:43], 0
	v_add_co_u32 v17, s5, s36, v14
	s_cselect_b32 s4, -1, 0
	s_cmp_lg_u32 s39, 0
	v_add_co_ci_u32_e64 v18, null, s40, 0, s5
	s_cselect_b32 s5, -1, 0
	v_add_co_u32 v19, s8, s72, v14
	s_and_b32 s82, s5, s4
	s_add_u32 s5, s22, s46
	s_addc_u32 s83, s23, s47
	s_add_u32 s84, s5, 24
	s_addc_u32 s85, s83, 0
	s_add_u32 s4, s28, -8
	v_cmp_gt_i32_e64 s6, s39, v0
	v_writelane_b32 v32, s4, 2
	s_addc_u32 s4, s29, -1
	v_add_co_ci_u32_e64 v20, null, s73, 0, s8
	v_writelane_b32 v32, s4, 3
	s_add_u32 s4, s72, -8
	v_writelane_b32 v32, s4, 4
	s_addc_u32 s4, s73, -1
	v_writelane_b32 v32, s4, 5
	s_add_u32 s4, s36, -8
	v_writelane_b32 v32, s4, 6
	s_addc_u32 s4, s40, -1
	s_add_u32 s90, s5, 40
	s_addc_u32 s94, s83, 0
	s_add_u32 s95, s5, 32
	v_writelane_b32 v32, s4, 7
	s_addc_u32 s93, s83, 0
	v_writelane_b32 v32, s5, 8
	s_branch .LBB20_11
.LBB20_9:                               ;   in Loop: Header=BB20_11 Depth=1
	s_or_b32 exec_lo, exec_lo, s24
.LBB20_10:                              ;   in Loop: Header=BB20_11 Depth=1
	s_add_i32 s7, s77, s7
	v_cmp_lt_i32_e32 vcc_lo, s7, v13
	s_cbranch_vccz .LBB20_172
.LBB20_11:                              ; =>This Loop Header: Depth=1
                                        ;     Child Loop BB20_15 Depth 2
                                        ;     Child Loop BB20_40 Depth 2
	;; [unrolled: 1-line block ×5, first 2 shown]
                                        ;       Child Loop BB20_158 Depth 3
                                        ;     Child Loop BB20_163 Depth 2
                                        ;       Child Loop BB20_164 Depth 3
                                        ;     Child Loop BB20_169 Depth 2
                                        ;       Child Loop BB20_170 Depth 3
	s_lshl_b32 s8, s7, 2
	s_ashr_i32 s9, s8, 31
	s_lshl_b64 s[8:9], s[8:9], 2
	s_add_u32 s48, s14, s8
	s_addc_u32 s49, s33, s9
	global_load_dwordx2 v[2:3], v1, s[48:49] offset:4
	s_waitcnt vmcnt(0)
	v_readfirstlane_b32 s28, v3
	v_readfirstlane_b32 s30, v2
	s_cmp_le_i32 s28, s30
	s_cbranch_scc1 .LBB20_10
; %bb.12:                               ;   in Loop: Header=BB20_11 Depth=1
	global_load_dword v2, v1, s[48:49] offset:12
	s_waitcnt vmcnt(0)
	v_cmp_le_i32_e32 vcc_lo, s75, v2
	s_cbranch_vccnz .LBB20_10
; %bb.13:                               ;   in Loop: Header=BB20_11 Depth=1
	v_mov_b32_e32 v2, 0
	v_mov_b32_e32 v3, 0
	s_sub_i32 s22, s28, s30
	s_ashr_i32 s31, s30, 31
	s_mov_b32 s12, exec_lo
	v_cmpx_ge_i32_e64 s22, v0
	s_cbranch_execz .LBB20_17
; %bb.14:                               ;   in Loop: Header=BB20_11 Depth=1
	s_lshl_b64 s[8:9], s[30:31], 3
	v_mov_b32_e32 v2, 0
	v_add_co_u32 v4, vcc_lo, v17, s8
	v_add_co_ci_u32_e64 v5, null, s9, v18, vcc_lo
	v_mov_b32_e32 v3, 0
	v_mov_b32_e32 v6, v0
	s_mov_b32 s23, 0
	.p2align	6
.LBB20_15:                              ;   Parent Loop BB20_11 Depth=1
                                        ; =>  This Inner Loop Header: Depth=2
	global_load_dwordx2 v[7:8], v[4:5], off
	v_add_nc_u32_e32 v6, 0x100, v6
	v_add_co_u32 v4, s8, 0x800, v4
	v_add_co_ci_u32_e64 v5, null, 0, v5, s8
	v_cmp_lt_i32_e64 s9, s22, v6
	s_or_b32 s23, s9, s23
	s_waitcnt vmcnt(0)
	v_cmp_lt_f64_e64 vcc_lo, v[2:3], |v[7:8]|
	v_and_b32_e32 v9, 0x7fffffff, v8
	v_cndmask_b32_e32 v3, v3, v9, vcc_lo
	v_cndmask_b32_e32 v2, v2, v7, vcc_lo
	s_andn2_b32 exec_lo, exec_lo, s23
	s_cbranch_execnz .LBB20_15
; %bb.16:                               ;   in Loop: Header=BB20_11 Depth=1
	s_or_b32 exec_lo, exec_lo, s23
.LBB20_17:                              ;   in Loop: Header=BB20_11 Depth=1
	s_or_b32 exec_lo, exec_lo, s12
	ds_write_b64 v14, v[2:3]
	s_waitcnt lgkmcnt(0)
	s_barrier
	buffer_gl0_inv
	s_and_saveexec_b32 s8, s0
	s_cbranch_execz .LBB20_21
; %bb.18:                               ;   in Loop: Header=BB20_11 Depth=1
	ds_read_b64 v[4:5], v14 offset:1024
	s_mov_b32 s9, exec_lo
	s_waitcnt lgkmcnt(0)
	v_cmpx_lt_f64_e32 v[2:3], v[4:5]
; %bb.19:                               ;   in Loop: Header=BB20_11 Depth=1
	v_mov_b32_e32 v2, v4
	v_mov_b32_e32 v3, v5
	ds_write_b64 v14, v[4:5]
; %bb.20:                               ;   in Loop: Header=BB20_11 Depth=1
	s_or_b32 exec_lo, exec_lo, s9
.LBB20_21:                              ;   in Loop: Header=BB20_11 Depth=1
	s_or_b32 exec_lo, exec_lo, s8
	s_waitcnt lgkmcnt(0)
	s_barrier
	buffer_gl0_inv
	s_and_saveexec_b32 s8, s1
	s_cbranch_execz .LBB20_25
; %bb.22:                               ;   in Loop: Header=BB20_11 Depth=1
	ds_read_b64 v[4:5], v14 offset:512
	s_mov_b32 s9, exec_lo
	s_waitcnt lgkmcnt(0)
	v_cmpx_lt_f64_e32 v[2:3], v[4:5]
; %bb.23:                               ;   in Loop: Header=BB20_11 Depth=1
	v_mov_b32_e32 v2, v4
	v_mov_b32_e32 v3, v5
	ds_write_b64 v14, v[4:5]
; %bb.24:                               ;   in Loop: Header=BB20_11 Depth=1
	s_or_b32 exec_lo, exec_lo, s9
.LBB20_25:                              ;   in Loop: Header=BB20_11 Depth=1
	s_or_b32 exec_lo, exec_lo, s8
	s_waitcnt lgkmcnt(0)
	s_barrier
	buffer_gl0_inv
	s_and_saveexec_b32 s8, s2
	s_cbranch_execz .LBB20_38
; %bb.26:                               ;   in Loop: Header=BB20_11 Depth=1
	ds_read_b64 v[4:5], v14 offset:256
	s_mov_b32 s9, exec_lo
	s_waitcnt lgkmcnt(0)
	v_cmpx_lt_f64_e32 v[2:3], v[4:5]
; %bb.27:                               ;   in Loop: Header=BB20_11 Depth=1
	v_mov_b32_e32 v2, v4
	v_mov_b32_e32 v3, v5
	ds_write_b64 v14, v[4:5]
; %bb.28:                               ;   in Loop: Header=BB20_11 Depth=1
	s_or_b32 exec_lo, exec_lo, s9
	ds_read_b64 v[4:5], v14 offset:128
	s_mov_b32 s9, exec_lo
	s_waitcnt lgkmcnt(0)
	v_cmpx_lt_f64_e32 v[2:3], v[4:5]
; %bb.29:                               ;   in Loop: Header=BB20_11 Depth=1
	v_mov_b32_e32 v2, v4
	v_mov_b32_e32 v3, v5
	ds_write_b64 v14, v[4:5]
; %bb.30:                               ;   in Loop: Header=BB20_11 Depth=1
	s_or_b32 exec_lo, exec_lo, s9
	;; [unrolled: 10-line block ×5, first 2 shown]
	ds_read_b64 v[4:5], v14 offset:8
	s_waitcnt lgkmcnt(0)
	v_cmp_lt_f64_e32 vcc_lo, v[2:3], v[4:5]
	s_and_b32 exec_lo, exec_lo, vcc_lo
; %bb.37:                               ;   in Loop: Header=BB20_11 Depth=1
	ds_write_b64 v14, v[4:5]
.LBB20_38:                              ;   in Loop: Header=BB20_11 Depth=1
	s_or_b32 exec_lo, exec_lo, s8
	v_mov_b32_e32 v2, 0
	v_mov_b32_e32 v3, 0
	s_mov_b32 s12, exec_lo
	s_waitcnt lgkmcnt(0)
	s_barrier
	buffer_gl0_inv
	v_cmpx_gt_i32_e64 s22, v0
	s_cbranch_execz .LBB20_42
; %bb.39:                               ;   in Loop: Header=BB20_11 Depth=1
	s_lshl_b64 s[8:9], s[30:31], 3
	v_mov_b32_e32 v2, 0
	v_add_co_u32 v4, vcc_lo, v19, s8
	v_add_co_ci_u32_e64 v5, null, s9, v20, vcc_lo
	v_mov_b32_e32 v3, 0
	v_mov_b32_e32 v6, v0
	s_mov_b32 s23, 0
	.p2align	6
.LBB20_40:                              ;   Parent Loop BB20_11 Depth=1
                                        ; =>  This Inner Loop Header: Depth=2
	global_load_dwordx2 v[7:8], v[4:5], off
	v_add_nc_u32_e32 v6, 0x100, v6
	v_add_co_u32 v4, s8, 0x800, v4
	v_add_co_ci_u32_e64 v5, null, 0, v5, s8
	v_cmp_le_i32_e64 s9, s22, v6
	s_or_b32 s23, s9, s23
	s_waitcnt vmcnt(0)
	v_cmp_lt_f64_e64 vcc_lo, v[2:3], |v[7:8]|
	v_and_b32_e32 v9, 0x7fffffff, v8
	v_cndmask_b32_e32 v3, v3, v9, vcc_lo
	v_cndmask_b32_e32 v2, v2, v7, vcc_lo
	s_andn2_b32 exec_lo, exec_lo, s23
	s_cbranch_execnz .LBB20_40
; %bb.41:                               ;   in Loop: Header=BB20_11 Depth=1
	s_or_b32 exec_lo, exec_lo, s23
.LBB20_42:                              ;   in Loop: Header=BB20_11 Depth=1
	s_or_b32 exec_lo, exec_lo, s12
	s_cmp_lt_i32 s22, 2
	ds_write_b64 v14, v[2:3] offset:8
	s_waitcnt lgkmcnt(0)
	s_barrier
	buffer_gl0_inv
	s_cbranch_scc1 .LBB20_65
; %bb.43:                               ;   in Loop: Header=BB20_11 Depth=1
	s_and_saveexec_b32 s8, s0
	s_cbranch_execz .LBB20_47
; %bb.44:                               ;   in Loop: Header=BB20_11 Depth=1
	ds_read_b64 v[4:5], v14 offset:1032
	s_mov_b32 s9, exec_lo
	s_waitcnt lgkmcnt(0)
	v_cmpx_lt_f64_e32 v[2:3], v[4:5]
; %bb.45:                               ;   in Loop: Header=BB20_11 Depth=1
	v_mov_b32_e32 v2, v4
	v_mov_b32_e32 v3, v5
	ds_write_b64 v14, v[4:5] offset:8
; %bb.46:                               ;   in Loop: Header=BB20_11 Depth=1
	s_or_b32 exec_lo, exec_lo, s9
.LBB20_47:                              ;   in Loop: Header=BB20_11 Depth=1
	s_or_b32 exec_lo, exec_lo, s8
	s_waitcnt lgkmcnt(0)
	s_barrier
	buffer_gl0_inv
	s_and_saveexec_b32 s8, s1
	s_cbranch_execz .LBB20_51
; %bb.48:                               ;   in Loop: Header=BB20_11 Depth=1
	ds_read_b64 v[4:5], v14 offset:520
	s_mov_b32 s9, exec_lo
	s_waitcnt lgkmcnt(0)
	v_cmpx_lt_f64_e32 v[2:3], v[4:5]
; %bb.49:                               ;   in Loop: Header=BB20_11 Depth=1
	v_mov_b32_e32 v2, v4
	v_mov_b32_e32 v3, v5
	ds_write_b64 v14, v[4:5] offset:8
; %bb.50:                               ;   in Loop: Header=BB20_11 Depth=1
	s_or_b32 exec_lo, exec_lo, s9
.LBB20_51:                              ;   in Loop: Header=BB20_11 Depth=1
	s_or_b32 exec_lo, exec_lo, s8
	s_waitcnt lgkmcnt(0)
	s_barrier
	buffer_gl0_inv
	s_and_saveexec_b32 s8, s2
	s_cbranch_execz .LBB20_64
; %bb.52:                               ;   in Loop: Header=BB20_11 Depth=1
	ds_read_b64 v[4:5], v14 offset:264
	s_mov_b32 s9, exec_lo
	s_waitcnt lgkmcnt(0)
	v_cmpx_lt_f64_e32 v[2:3], v[4:5]
; %bb.53:                               ;   in Loop: Header=BB20_11 Depth=1
	v_mov_b32_e32 v2, v4
	v_mov_b32_e32 v3, v5
	ds_write_b64 v14, v[4:5] offset:8
; %bb.54:                               ;   in Loop: Header=BB20_11 Depth=1
	s_or_b32 exec_lo, exec_lo, s9
	ds_read_b64 v[4:5], v14 offset:136
	s_mov_b32 s9, exec_lo
	s_waitcnt lgkmcnt(0)
	v_cmpx_lt_f64_e32 v[2:3], v[4:5]
; %bb.55:                               ;   in Loop: Header=BB20_11 Depth=1
	v_mov_b32_e32 v2, v4
	v_mov_b32_e32 v3, v5
	ds_write_b64 v14, v[4:5] offset:8
; %bb.56:                               ;   in Loop: Header=BB20_11 Depth=1
	s_or_b32 exec_lo, exec_lo, s9
	;; [unrolled: 10-line block ×5, first 2 shown]
	ds_read_b64 v[4:5], v14 offset:16
	s_waitcnt lgkmcnt(0)
	v_cmp_lt_f64_e32 vcc_lo, v[2:3], v[4:5]
	s_and_b32 exec_lo, exec_lo, vcc_lo
; %bb.63:                               ;   in Loop: Header=BB20_11 Depth=1
	ds_write_b64 v14, v[4:5] offset:8
.LBB20_64:                              ;   in Loop: Header=BB20_11 Depth=1
	s_or_b32 exec_lo, exec_lo, s8
.LBB20_65:                              ;   in Loop: Header=BB20_11 Depth=1
	s_lshl_b64 s[46:47], s[30:31], 3
	s_waitcnt lgkmcnt(0)
	s_add_u32 s12, s72, s46
	s_addc_u32 s96, s73, s47
	s_add_u32 s58, s36, s46
	s_addc_u32 s59, s40, s47
	s_barrier
	buffer_gl0_inv
	s_and_saveexec_b32 s9, s3
	s_cbranch_execz .LBB20_79
; %bb.66:                               ;   in Loop: Header=BB20_11 Depth=1
	s_ashr_i32 s29, s28, 31
	s_lshl_b64 s[24:25], s[28:29], 3
	s_add_u32 s24, s36, s24
	s_addc_u32 s25, s40, s25
	s_clause 0x1
	global_load_dwordx2 v[3:4], v1, s[58:59]
	global_load_dwordx2 v[5:6], v1, s[24:25]
	s_ashr_i32 s23, s22, 31
	s_lshl_b64 s[24:25], s[22:23], 3
	s_add_u32 s4, s58, s24
	s_addc_u32 s5, s59, s25
	s_waitcnt vmcnt(0)
	v_cmp_ge_f64_e64 s8, |v[3:4]|, |v[5:6]|
	v_and_b32_e32 v4, 0x7fffffff, v4
	v_and_b32_e32 v6, 0x7fffffff, v6
	s_and_b32 s23, s8, exec_lo
	s_cselect_b32 s25, s59, s5
	s_cselect_b32 s24, s58, s4
	v_cndmask_b32_e64 v2, 0, 1, s8
	global_load_dwordx2 v[7:8], v1, s[24:25]
	s_not_b32 s4, s30
	s_mov_b32 s24, 0
	s_add_i32 s23, s4, s28
	ds_write_b32 v1, v2 offset:2064
	s_waitcnt vmcnt(0)
	v_and_b32_e32 v8, 0x7fffffff, v8
	v_mov_b32_e32 v10, v8
	v_mov_b32_e32 v9, v7
	s_branch .LBB20_68
.LBB20_67:                              ;   in Loop: Header=BB20_68 Depth=2
	s_add_i32 s24, s24, 1
	s_and_b32 s4, s8, exec_lo
	s_cselect_b32 s52, s24, s23
	v_add_f64 v[11:12], v[9:10], |v[11:12]|
	s_ashr_i32 s53, s52, 31
	s_mov_b32 s25, 0
	s_lshl_b64 s[52:53], s[52:53], 3
	s_add_u32 s52, s58, s52
	s_addc_u32 s53, s59, s53
	s_add_i32 s23, s23, -1
	global_load_dwordx2 v[22:23], v1, s[52:53]
	s_cmp_eq_u32 s23, -1
	s_cselect_b32 s29, -1, 0
	v_div_scale_f64 v[24:25], null, v[11:12], v[11:12], v[9:10]
	v_rcp_f64_e32 v[26:27], v[24:25]
	v_fma_f64 v[28:29], -v[24:25], v[26:27], 1.0
	v_fma_f64 v[26:27], v[26:27], v[28:29], v[26:27]
	v_fma_f64 v[28:29], -v[24:25], v[26:27], 1.0
	v_fma_f64 v[26:27], v[26:27], v[28:29], v[26:27]
	v_div_scale_f64 v[28:29], vcc_lo, v[9:10], v[11:12], v[9:10]
	v_mul_f64 v[30:31], v[28:29], v[26:27]
	v_fma_f64 v[24:25], -v[24:25], v[30:31], v[28:29]
	v_div_fmas_f64 v[24:25], v[24:25], v[26:27], v[30:31]
	v_div_fixup_f64 v[9:10], v[24:25], v[11:12], v[9:10]
	s_waitcnt vmcnt(0)
	v_mul_f64 v[9:10], v[9:10], |v[22:23]|
	v_cmp_lt_f64_e32 vcc_lo, v[9:10], v[7:8]
	v_cndmask_b32_e32 v8, v8, v10, vcc_lo
	v_cndmask_b32_e32 v7, v7, v9, vcc_lo
	s_andn2_b32 vcc_lo, exec_lo, s29
	s_cbranch_vccz .LBB20_70
.LBB20_68:                              ;   Parent Loop BB20_11 Depth=1
                                        ; =>  This Inner Loop Header: Depth=2
	s_and_b32 s4, s8, exec_lo
	s_cselect_b32 s50, s24, s23
	v_mul_f64 v[22:23], s[16:17], v[9:10]
	s_ashr_i32 s51, s50, 31
	s_lshl_b64 s[50:51], s[50:51], 3
	s_add_u32 s50, s12, s50
	s_addc_u32 s51, s96, s51
	global_load_dwordx2 v[11:12], v1, s[50:51]
	s_waitcnt vmcnt(0)
	v_cmp_nle_f64_e64 s4, |v[11:12]|, v[22:23]
	s_and_b32 vcc_lo, exec_lo, s4
	s_cbranch_vccnz .LBB20_67
; %bb.69:                               ;   in Loop: Header=BB20_11 Depth=1
	s_mov_b32 s25, -1
                                        ; implicit-def: $vgpr9_vgpr10
                                        ; implicit-def: $sgpr23
                                        ; implicit-def: $sgpr24
                                        ; implicit-def: $vgpr7_vgpr8
.LBB20_70:                              ;   in Loop: Header=BB20_11 Depth=1
	s_and_b32 vcc_lo, exec_lo, s25
	s_cbranch_vccz .LBB20_72
; %bb.71:                               ;   in Loop: Header=BB20_11 Depth=1
	v_mov_b32_e32 v7, 0
	v_mov_b32_e32 v2, v1
	;; [unrolled: 1-line block ×3, first 2 shown]
	global_store_dwordx2 v1, v[1:2], s[50:51]
.LBB20_72:                              ;   in Loop: Header=BB20_11 Depth=1
	v_cmp_nle_f64_e32 vcc_lo, 0, v[7:8]
	ds_write_b64 v1, v[7:8] offset:2056
	ds_write_b8 v1, v1 offset:2068
	s_cbranch_vccnz .LBB20_79
; %bb.73:                               ;   in Loop: Header=BB20_11 Depth=1
	ds_read_b128 v[9:12], v1
	s_mov_b32 s23, -1
	s_waitcnt lgkmcnt(0)
	v_cmp_lt_f64_e32 vcc_lo, v[9:10], v[11:12]
	v_cndmask_b32_e32 v10, v10, v12, vcc_lo
	v_cndmask_b32_e32 v9, v9, v11, vcc_lo
	v_div_scale_f64 v[11:12], null, v[9:10], v[9:10], v[7:8]
	v_rcp_f64_e32 v[22:23], v[11:12]
	v_fma_f64 v[24:25], -v[11:12], v[22:23], 1.0
	v_fma_f64 v[22:23], v[22:23], v[24:25], v[22:23]
	v_fma_f64 v[24:25], -v[11:12], v[22:23], 1.0
	v_fma_f64 v[22:23], v[22:23], v[24:25], v[22:23]
	v_div_scale_f64 v[24:25], vcc_lo, v[7:8], v[9:10], v[7:8]
	v_mul_f64 v[26:27], v[24:25], v[22:23]
	v_fma_f64 v[11:12], -v[11:12], v[26:27], v[24:25]
	v_div_fmas_f64 v[11:12], v[11:12], v[22:23], v[26:27]
	v_div_fixup_f64 v[9:10], v[11:12], v[9:10], v[7:8]
	v_cmp_ge_f64_e32 vcc_lo, s[18:19], v[9:10]
	s_cbranch_vccnz .LBB20_76
; %bb.74:                               ;   in Loop: Header=BB20_11 Depth=1
	v_cndmask_b32_e64 v4, v6, v4, s8
	v_cndmask_b32_e64 v3, v5, v3, s8
	s_mov_b32 s23, 0
	v_cmp_lt_f64_e32 vcc_lo, 0, v[3:4]
	s_cbranch_vccz .LBB20_76
; %bb.75:                               ;   in Loop: Header=BB20_11 Depth=1
	v_mul_f64 v[5:6], v[7:8], v[7:8]
	v_readlane_b32 s4, v32, 0
	v_readlane_b32 s5, v32, 1
	v_div_scale_f64 v[7:8], null, v[3:4], v[3:4], v[5:6]
	v_div_scale_f64 v[22:23], vcc_lo, v[5:6], v[3:4], v[5:6]
	v_rcp_f64_e32 v[9:10], v[7:8]
	v_fma_f64 v[11:12], -v[7:8], v[9:10], 1.0
	v_fma_f64 v[9:10], v[9:10], v[11:12], v[9:10]
	v_fma_f64 v[11:12], -v[7:8], v[9:10], 1.0
	v_fma_f64 v[9:10], v[9:10], v[11:12], v[9:10]
	v_mul_f64 v[11:12], v[22:23], v[9:10]
	v_fma_f64 v[7:8], -v[7:8], v[11:12], v[22:23]
	v_div_fmas_f64 v[7:8], v[7:8], v[9:10], v[11:12]
	v_div_fixup_f64 v[5:6], v[7:8], v[3:4], v[5:6]
	v_div_scale_f64 v[7:8], null, v[3:4], v[3:4], v[5:6]
	v_rcp_f64_e32 v[9:10], v[7:8]
	v_fma_f64 v[11:12], -v[7:8], v[9:10], 1.0
	v_fma_f64 v[9:10], v[9:10], v[11:12], v[9:10]
	v_fma_f64 v[11:12], -v[7:8], v[9:10], 1.0
	v_fma_f64 v[9:10], v[9:10], v[11:12], v[9:10]
	v_div_scale_f64 v[11:12], vcc_lo, v[5:6], v[3:4], v[5:6]
	v_mul_f64 v[22:23], v[11:12], v[9:10]
	v_fma_f64 v[7:8], -v[7:8], v[22:23], v[11:12]
	v_div_fmas_f64 v[7:8], v[7:8], v[9:10], v[22:23]
	v_div_fixup_f64 v[2:3], v[7:8], v[3:4], v[5:6]
	v_cmp_gt_f64_e64 s23, s[4:5], v[2:3]
.LBB20_76:                              ;   in Loop: Header=BB20_11 Depth=1
	s_and_b32 vcc_lo, exec_lo, s23
	s_cbranch_vccz .LBB20_78
; %bb.77:                               ;   in Loop: Header=BB20_11 Depth=1
	v_mov_b32_e32 v2, v1
	ds_write_b64 v1, v[1:2] offset:2056
.LBB20_78:                              ;   in Loop: Header=BB20_11 Depth=1
	ds_write_b8 v1, v21 offset:2068
.LBB20_79:                              ;   in Loop: Header=BB20_11 Depth=1
	s_or_b32 exec_lo, exec_lo, s9
	s_waitcnt lgkmcnt(0)
	s_waitcnt_vscnt null, 0x0
	s_barrier
	buffer_gl0_inv
	ds_read_u8 v2, v1 offset:2068
	s_mov_b32 s8, -1
	s_waitcnt lgkmcnt(0)
	v_cmp_eq_u32_e32 vcc_lo, 0, v2
	s_cbranch_vccz .LBB20_83
; %bb.80:                               ;   in Loop: Header=BB20_11 Depth=1
	s_and_saveexec_b32 s8, s3
	s_cbranch_execz .LBB20_82
; %bb.81:                               ;   in Loop: Header=BB20_11 Depth=1
	global_store_dword v1, v1, s[48:49]
.LBB20_82:                              ;   in Loop: Header=BB20_11 Depth=1
	s_or_b32 exec_lo, exec_lo, s8
	s_mov_b32 s8, 0
.LBB20_83:                              ;   in Loop: Header=BB20_11 Depth=1
	s_andn2_b32 vcc_lo, exec_lo, s8
	s_cbranch_vccnz .LBB20_10
; %bb.84:                               ;   in Loop: Header=BB20_11 Depth=1
	ds_read_b32 v2, v1 offset:2064
	s_waitcnt lgkmcnt(0)
	v_readfirstlane_b32 s8, v2
	s_and_saveexec_b32 s9, s3
	s_cbranch_execz .LBB20_86
; %bb.85:                               ;   in Loop: Header=BB20_11 Depth=1
	s_cmp_eq_u32 s8, 0
	s_cselect_b32 s4, -1, 1
	v_mov_b32_e32 v2, s4
	global_store_dword v1, v2, s[48:49]
.LBB20_86:                              ;   in Loop: Header=BB20_11 Depth=1
	s_or_b32 exec_lo, exec_lo, s9
	s_add_i32 s54, s22, 1
	s_mul_i32 s48, s30, s76
	s_sub_i32 s52, 1, s8
	s_ashr_i32 s49, s48, 31
	s_sub_i32 s50, s8, s52
	s_lshl_b32 s4, s54, 1
	s_and_b32 s5, s74, exec_lo
	s_cselect_b32 s23, s4, 0
	s_and_saveexec_b32 s29, s3
	s_cbranch_execz .LBB20_152
; %bb.87:                               ;   in Loop: Header=BB20_11 Depth=1
	s_cmp_lg_u32 s8, 0
	v_mov_b32_e32 v8, 0
	s_cselect_b32 s97, -1, 0
	v_mov_b32_e32 v2, 0
	s_and_b32 s4, s97, exec_lo
	s_cselect_b32 s56, 0, s22
	v_mov_b32_e32 v9, 0
	s_ashr_i32 s57, s56, 31
	v_mov_b32_e32 v3, 0
	s_lshl_b64 s[24:25], s[56:57], 3
	s_add_u32 s60, s58, s24
	s_addc_u32 s61, s59, s25
	global_load_dwordx2 v[4:5], v1, s[60:61]
	s_waitcnt vmcnt(0)
	v_cmp_eq_f64_e32 vcc_lo, 0, v[4:5]
	s_cbranch_vccnz .LBB20_89
; %bb.88:                               ;   in Loop: Header=BB20_11 Depth=1
	ds_read_b64 v[2:3], v1 offset:2056
	s_waitcnt lgkmcnt(0)
	v_div_scale_f64 v[6:7], null, v[4:5], v[4:5], v[2:3]
	v_rcp_f64_e32 v[10:11], v[6:7]
	v_fma_f64 v[22:23], -v[6:7], v[10:11], 1.0
	v_fma_f64 v[10:11], v[10:11], v[22:23], v[10:11]
	v_fma_f64 v[22:23], -v[6:7], v[10:11], 1.0
	v_fma_f64 v[10:11], v[10:11], v[22:23], v[10:11]
	v_div_scale_f64 v[22:23], vcc_lo, v[2:3], v[4:5], v[2:3]
	v_mul_f64 v[24:25], v[22:23], v[10:11]
	v_fma_f64 v[6:7], -v[6:7], v[24:25], v[22:23]
	v_div_fmas_f64 v[6:7], v[6:7], v[10:11], v[24:25]
	v_cmp_lt_f64_e32 vcc_lo, 0, v[4:5]
	v_div_fixup_f64 v[6:7], v[6:7], v[4:5], v[2:3]
	v_cndmask_b32_e64 v10, 0, 1, vcc_lo
	v_cmp_gt_f64_e32 vcc_lo, 0, v[4:5]
	v_add_f64 v[2:3], |v[4:5]|, -v[2:3]
	v_subrev_co_ci_u32_e64 v10, null, 0, v10, vcc_lo
	v_cvt_f64_i32_e32 v[10:11], v10
	v_add_f64 v[6:7], v[6:7], v[10:11]
	v_mul_f64 v[2:3], v[2:3], v[6:7]
.LBB20_89:                              ;   in Loop: Header=BB20_11 Depth=1
	s_ashr_i32 s9, s8, 31
	s_sub_u32 s51, 0, s8
	s_subb_u32 s53, 0, s9
	s_add_u32 s58, s56, s8
	s_addc_u32 s59, s57, s9
	s_lshl_b64 s[62:63], s[58:59], 3
	s_add_u32 s64, s12, s62
	s_addc_u32 s65, s96, s63
	global_load_dwordx2 v[6:7], v1, s[64:65] offset:-8
	s_waitcnt vmcnt(0)
	v_cmp_eq_f64_e32 vcc_lo, 0, v[6:7]
	s_cbranch_vccnz .LBB20_93
; %bb.90:                               ;   in Loop: Header=BB20_11 Depth=1
	v_cmp_eq_f64_e32 vcc_lo, 0, v[2:3]
	s_cbranch_vccnz .LBB20_94
; %bb.91:                               ;   in Loop: Header=BB20_11 Depth=1
	v_cmp_gt_f64_e64 s4, |v[6:7]|, |v[2:3]|
	s_and_b32 vcc_lo, exec_lo, s4
	s_cbranch_vccnz .LBB20_95
; %bb.92:                               ;   in Loop: Header=BB20_11 Depth=1
	v_div_scale_f64 v[8:9], null, v[2:3], v[2:3], -v[6:7]
	v_div_scale_f64 v[24:25], vcc_lo, -v[6:7], v[2:3], -v[6:7]
	v_rcp_f64_e32 v[10:11], v[8:9]
	v_fma_f64 v[22:23], -v[8:9], v[10:11], 1.0
	v_fma_f64 v[10:11], v[10:11], v[22:23], v[10:11]
	v_fma_f64 v[22:23], -v[8:9], v[10:11], 1.0
	v_fma_f64 v[10:11], v[10:11], v[22:23], v[10:11]
	v_mul_f64 v[22:23], v[24:25], v[10:11]
	v_fma_f64 v[8:9], -v[8:9], v[22:23], v[24:25]
	v_div_fmas_f64 v[8:9], v[8:9], v[10:11], v[22:23]
	v_div_fixup_f64 v[8:9], v[8:9], v[2:3], -v[6:7]
	v_fma_f64 v[10:11], v[8:9], v[8:9], 1.0
	v_cmp_gt_f64_e32 vcc_lo, 0x10000000, v[10:11]
	s_and_b32 s4, vcc_lo, exec_lo
	s_cselect_b32 s4, 0x100, 0
	v_ldexp_f64 v[10:11], v[10:11], s4
	s_cselect_b32 s4, 0xffffff80, 0
	v_rsq_f64_e32 v[22:23], v[10:11]
	v_cmp_class_f64_e64 vcc_lo, v[10:11], 0x260
	v_mul_f64 v[24:25], v[10:11], v[22:23]
	v_mul_f64 v[22:23], v[22:23], 0.5
	v_fma_f64 v[26:27], -v[22:23], v[24:25], 0.5
	v_fma_f64 v[24:25], v[24:25], v[26:27], v[24:25]
	v_fma_f64 v[22:23], v[22:23], v[26:27], v[22:23]
	v_fma_f64 v[26:27], -v[24:25], v[24:25], v[10:11]
	v_fma_f64 v[24:25], v[26:27], v[22:23], v[24:25]
	v_fma_f64 v[26:27], -v[24:25], v[24:25], v[10:11]
	v_fma_f64 v[22:23], v[26:27], v[22:23], v[24:25]
	v_ldexp_f64 v[22:23], v[22:23], s4
	v_cndmask_b32_e32 v11, v23, v11, vcc_lo
	v_cndmask_b32_e32 v10, v22, v10, vcc_lo
	v_div_scale_f64 v[22:23], null, v[10:11], v[10:11], 1.0
	v_rcp_f64_e32 v[24:25], v[22:23]
	v_fma_f64 v[26:27], -v[22:23], v[24:25], 1.0
	v_fma_f64 v[24:25], v[24:25], v[26:27], v[24:25]
	v_fma_f64 v[26:27], -v[22:23], v[24:25], 1.0
	v_fma_f64 v[24:25], v[24:25], v[26:27], v[24:25]
	v_div_scale_f64 v[26:27], vcc_lo, 1.0, v[10:11], 1.0
	v_mul_f64 v[28:29], v[26:27], v[24:25]
	v_fma_f64 v[22:23], -v[22:23], v[28:29], v[26:27]
	v_div_fmas_f64 v[22:23], v[22:23], v[24:25], v[28:29]
	v_div_fixup_f64 v[10:11], v[22:23], v[10:11], 1.0
	v_mul_f64 v[8:9], v[8:9], v[10:11]
	s_cbranch_execz .LBB20_96
	s_branch .LBB20_97
.LBB20_93:                              ;   in Loop: Header=BB20_11 Depth=1
	v_mov_b32_e32 v10, 0
	v_mov_b32_e32 v11, 0x3ff00000
	s_branch .LBB20_97
.LBB20_94:                              ;   in Loop: Header=BB20_11 Depth=1
	v_mov_b32_e32 v10, 0
	v_mov_b32_e32 v8, 0
	;; [unrolled: 1-line block ×4, first 2 shown]
	s_branch .LBB20_97
.LBB20_95:                              ;   in Loop: Header=BB20_11 Depth=1
                                        ; implicit-def: $vgpr8_vgpr9
                                        ; implicit-def: $vgpr10_vgpr11
.LBB20_96:                              ;   in Loop: Header=BB20_11 Depth=1
	v_div_scale_f64 v[8:9], null, v[6:7], v[6:7], -v[2:3]
	v_div_scale_f64 v[24:25], vcc_lo, -v[2:3], v[6:7], -v[2:3]
	v_rcp_f64_e32 v[10:11], v[8:9]
	v_fma_f64 v[22:23], -v[8:9], v[10:11], 1.0
	v_fma_f64 v[10:11], v[10:11], v[22:23], v[10:11]
	v_fma_f64 v[22:23], -v[8:9], v[10:11], 1.0
	v_fma_f64 v[10:11], v[10:11], v[22:23], v[10:11]
	v_mul_f64 v[22:23], v[24:25], v[10:11]
	v_fma_f64 v[8:9], -v[8:9], v[22:23], v[24:25]
	v_div_fmas_f64 v[8:9], v[8:9], v[10:11], v[22:23]
	v_div_fixup_f64 v[2:3], v[8:9], v[6:7], -v[2:3]
	v_fma_f64 v[8:9], v[2:3], v[2:3], 1.0
	v_cmp_gt_f64_e32 vcc_lo, 0x10000000, v[8:9]
	s_and_b32 s4, vcc_lo, exec_lo
	s_cselect_b32 s4, 0x100, 0
	v_ldexp_f64 v[8:9], v[8:9], s4
	s_cselect_b32 s4, 0xffffff80, 0
	v_rsq_f64_e32 v[10:11], v[8:9]
	v_cmp_class_f64_e64 vcc_lo, v[8:9], 0x260
	v_mul_f64 v[22:23], v[8:9], v[10:11]
	v_mul_f64 v[10:11], v[10:11], 0.5
	v_fma_f64 v[24:25], -v[10:11], v[22:23], 0.5
	v_fma_f64 v[22:23], v[22:23], v[24:25], v[22:23]
	v_fma_f64 v[10:11], v[10:11], v[24:25], v[10:11]
	v_fma_f64 v[24:25], -v[22:23], v[22:23], v[8:9]
	v_fma_f64 v[22:23], v[24:25], v[10:11], v[22:23]
	v_fma_f64 v[24:25], -v[22:23], v[22:23], v[8:9]
	v_fma_f64 v[10:11], v[24:25], v[10:11], v[22:23]
	v_ldexp_f64 v[10:11], v[10:11], s4
	v_cndmask_b32_e32 v9, v11, v9, vcc_lo
	v_cndmask_b32_e32 v8, v10, v8, vcc_lo
	v_div_scale_f64 v[10:11], null, v[8:9], v[8:9], 1.0
	v_rcp_f64_e32 v[22:23], v[10:11]
	v_fma_f64 v[24:25], -v[10:11], v[22:23], 1.0
	v_fma_f64 v[22:23], v[22:23], v[24:25], v[22:23]
	v_fma_f64 v[24:25], -v[10:11], v[22:23], 1.0
	v_fma_f64 v[22:23], v[22:23], v[24:25], v[22:23]
	v_div_scale_f64 v[24:25], vcc_lo, 1.0, v[8:9], 1.0
	v_mul_f64 v[26:27], v[24:25], v[22:23]
	v_fma_f64 v[10:11], -v[10:11], v[26:27], v[24:25]
	v_div_fmas_f64 v[10:11], v[10:11], v[22:23], v[26:27]
	v_div_fixup_f64 v[8:9], v[10:11], v[8:9], 1.0
	v_mul_f64 v[10:11], v[2:3], v[8:9]
.LBB20_97:                              ;   in Loop: Header=BB20_11 Depth=1
	v_mul_f64 v[2:3], v[4:5], v[8:9]
	s_lshl_b64 s[66:67], s[48:49], 3
	s_and_b32 s4, s74, s97
	s_add_u32 s24, s44, s66
	s_addc_u32 s25, s45, s67
	s_sub_u32 s68, s8, s51
	s_subb_u32 s69, s9, s53
	v_cndmask_b32_e64 v12, 0, 1, s4
	s_lshl_b64 s[70:71], s[68:69], 3
	s_add_u32 s70, s60, s70
	s_addc_u32 s71, s61, s71
	s_andn2_b32 vcc_lo, exec_lo, s4
	v_fma_f64 v[2:3], v[6:7], v[10:11], v[2:3]
	global_store_dwordx2 v1, v[2:3], s[64:65] offset:-8
	global_load_dwordx2 v[2:3], v1, s[70:71] offset:-8
	s_waitcnt vmcnt(0)
	v_mul_f64 v[22:23], v[10:11], v[2:3]
	global_store_dwordx2 v1, v[22:23], s[70:71] offset:-8
	s_cbranch_vccnz .LBB20_99
; %bb.98:                               ;   in Loop: Header=BB20_11 Depth=1
	s_add_u32 s86, s24, s62
	s_addc_u32 s87, s25, s63
	s_ashr_i32 s55, s54, 31
	s_lshl_b64 s[98:99], s[54:55], 3
	s_add_u32 s98, s86, s98
	s_addc_u32 s99, s87, s99
	global_store_dwordx2 v1, v[10:11], s[86:87] offset:24
	global_store_dwordx2 v1, v[8:9], s[98:99] offset:24
.LBB20_99:                              ;   in Loop: Header=BB20_11 Depth=1
	s_cmp_lg_u32 s8, 1
	s_cselect_b32 s57, -1, 0
	s_cmp_eq_u32 s8, 1
	s_cselect_b32 s4, -1, 0
	s_or_b32 s53, s78, s4
	s_and_b32 vcc_lo, exec_lo, s53
	s_cbranch_vccnz .LBB20_101
; %bb.100:                              ;   in Loop: Header=BB20_11 Depth=1
	s_ashr_i32 s4, s23, 31
	s_add_u32 s86, s58, s23
	s_addc_u32 s87, s59, s4
	s_lshl_b64 s[86:87], s[86:87], 3
	s_add_u32 s86, s24, s86
	s_addc_u32 s87, s25, s87
	s_ashr_i32 s55, s54, 31
	s_lshl_b64 s[98:99], s[54:55], 3
	s_add_u32 s98, s86, s98
	s_addc_u32 s99, s87, s99
	global_store_dwordx2 v1, v[10:11], s[86:87] offset:24
	global_store_dwordx2 v1, v[8:9], s[98:99] offset:24
.LBB20_101:                             ;   in Loop: Header=BB20_11 Depth=1
	v_mul_f64 v[2:3], v[2:3], -v[8:9]
	v_mul_f64 v[6:7], v[6:7], v[8:9]
	v_cmp_eq_f64_e32 vcc_lo, 0, v[2:3]
	v_fma_f64 v[4:5], v[4:5], v[10:11], -v[6:7]
	s_cbranch_vccnz .LBB20_105
; %bb.102:                              ;   in Loop: Header=BB20_11 Depth=1
	v_cmp_eq_f64_e32 vcc_lo, 0, v[4:5]
	s_cbranch_vccnz .LBB20_106
; %bb.103:                              ;   in Loop: Header=BB20_11 Depth=1
	v_cmp_gt_f64_e64 s4, |v[2:3]|, |v[4:5]|
	s_and_b32 vcc_lo, exec_lo, s4
	s_cbranch_vccnz .LBB20_107
; %bb.104:                              ;   in Loop: Header=BB20_11 Depth=1
	v_div_scale_f64 v[6:7], null, v[4:5], v[4:5], -v[2:3]
	v_div_scale_f64 v[22:23], vcc_lo, -v[2:3], v[4:5], -v[2:3]
	v_rcp_f64_e32 v[8:9], v[6:7]
	v_fma_f64 v[10:11], -v[6:7], v[8:9], 1.0
	v_fma_f64 v[8:9], v[8:9], v[10:11], v[8:9]
	v_fma_f64 v[10:11], -v[6:7], v[8:9], 1.0
	v_fma_f64 v[8:9], v[8:9], v[10:11], v[8:9]
	v_mul_f64 v[10:11], v[22:23], v[8:9]
	v_fma_f64 v[6:7], -v[6:7], v[10:11], v[22:23]
	v_div_fmas_f64 v[6:7], v[6:7], v[8:9], v[10:11]
	v_div_fixup_f64 v[8:9], v[6:7], v[4:5], -v[2:3]
	v_fma_f64 v[6:7], v[8:9], v[8:9], 1.0
	v_cmp_gt_f64_e32 vcc_lo, 0x10000000, v[6:7]
	s_and_b32 s4, vcc_lo, exec_lo
	s_cselect_b32 s4, 0x100, 0
	v_ldexp_f64 v[6:7], v[6:7], s4
	s_cselect_b32 s4, 0xffffff80, 0
	v_rsq_f64_e32 v[10:11], v[6:7]
	v_cmp_class_f64_e64 vcc_lo, v[6:7], 0x260
	v_mul_f64 v[22:23], v[6:7], v[10:11]
	v_mul_f64 v[10:11], v[10:11], 0.5
	v_fma_f64 v[24:25], -v[10:11], v[22:23], 0.5
	v_fma_f64 v[22:23], v[22:23], v[24:25], v[22:23]
	v_fma_f64 v[10:11], v[10:11], v[24:25], v[10:11]
	v_fma_f64 v[24:25], -v[22:23], v[22:23], v[6:7]
	v_fma_f64 v[22:23], v[24:25], v[10:11], v[22:23]
	v_fma_f64 v[24:25], -v[22:23], v[22:23], v[6:7]
	v_fma_f64 v[10:11], v[24:25], v[10:11], v[22:23]
	v_ldexp_f64 v[10:11], v[10:11], s4
	v_cndmask_b32_e32 v7, v11, v7, vcc_lo
	v_cndmask_b32_e32 v6, v10, v6, vcc_lo
	v_div_scale_f64 v[10:11], null, v[6:7], v[6:7], 1.0
	v_rcp_f64_e32 v[22:23], v[10:11]
	v_fma_f64 v[24:25], -v[10:11], v[22:23], 1.0
	v_fma_f64 v[22:23], v[22:23], v[24:25], v[22:23]
	v_fma_f64 v[24:25], -v[10:11], v[22:23], 1.0
	v_fma_f64 v[22:23], v[22:23], v[24:25], v[22:23]
	v_div_scale_f64 v[24:25], vcc_lo, 1.0, v[6:7], 1.0
	v_mul_f64 v[26:27], v[24:25], v[22:23]
	v_fma_f64 v[10:11], -v[10:11], v[26:27], v[24:25]
	v_div_fmas_f64 v[10:11], v[10:11], v[22:23], v[26:27]
	v_div_fixup_f64 v[6:7], v[10:11], v[6:7], 1.0
	v_mul_f64 v[8:9], v[8:9], v[6:7]
	s_cbranch_execz .LBB20_108
	s_branch .LBB20_109
.LBB20_105:                             ;   in Loop: Header=BB20_11 Depth=1
	v_mov_b32_e32 v6, 0
	v_mov_b32_e32 v8, 0
	;; [unrolled: 1-line block ×4, first 2 shown]
	s_branch .LBB20_111
.LBB20_106:                             ;   in Loop: Header=BB20_11 Depth=1
	v_xor_b32_e32 v5, 0x80000000, v3
	v_mov_b32_e32 v4, v2
                                        ; implicit-def: $vgpr8_vgpr9
                                        ; implicit-def: $vgpr6_vgpr7
	s_cbranch_execnz .LBB20_110
	s_branch .LBB20_111
.LBB20_107:                             ;   in Loop: Header=BB20_11 Depth=1
                                        ; implicit-def: $vgpr8_vgpr9
                                        ; implicit-def: $vgpr6_vgpr7
.LBB20_108:                             ;   in Loop: Header=BB20_11 Depth=1
	v_div_scale_f64 v[6:7], null, v[2:3], v[2:3], -v[4:5]
	v_div_scale_f64 v[22:23], vcc_lo, -v[4:5], v[2:3], -v[4:5]
	v_rcp_f64_e32 v[8:9], v[6:7]
	v_fma_f64 v[10:11], -v[6:7], v[8:9], 1.0
	v_fma_f64 v[8:9], v[8:9], v[10:11], v[8:9]
	v_fma_f64 v[10:11], -v[6:7], v[8:9], 1.0
	v_fma_f64 v[8:9], v[8:9], v[10:11], v[8:9]
	v_mul_f64 v[10:11], v[22:23], v[8:9]
	v_fma_f64 v[6:7], -v[6:7], v[10:11], v[22:23]
	v_div_fmas_f64 v[6:7], v[6:7], v[8:9], v[10:11]
	v_div_fixup_f64 v[6:7], v[6:7], v[2:3], -v[4:5]
	v_fma_f64 v[8:9], v[6:7], v[6:7], 1.0
	v_cmp_gt_f64_e32 vcc_lo, 0x10000000, v[8:9]
	s_and_b32 s4, vcc_lo, exec_lo
	s_cselect_b32 s4, 0x100, 0
	v_ldexp_f64 v[8:9], v[8:9], s4
	s_cselect_b32 s4, 0xffffff80, 0
	v_rsq_f64_e32 v[10:11], v[8:9]
	v_cmp_class_f64_e64 vcc_lo, v[8:9], 0x260
	v_mul_f64 v[22:23], v[8:9], v[10:11]
	v_mul_f64 v[10:11], v[10:11], 0.5
	v_fma_f64 v[24:25], -v[10:11], v[22:23], 0.5
	v_fma_f64 v[22:23], v[22:23], v[24:25], v[22:23]
	v_fma_f64 v[10:11], v[10:11], v[24:25], v[10:11]
	v_fma_f64 v[24:25], -v[22:23], v[22:23], v[8:9]
	v_fma_f64 v[22:23], v[24:25], v[10:11], v[22:23]
	v_fma_f64 v[24:25], -v[22:23], v[22:23], v[8:9]
	v_fma_f64 v[10:11], v[24:25], v[10:11], v[22:23]
	v_ldexp_f64 v[10:11], v[10:11], s4
	v_cndmask_b32_e32 v9, v11, v9, vcc_lo
	v_cndmask_b32_e32 v8, v10, v8, vcc_lo
	v_div_scale_f64 v[10:11], null, v[8:9], v[8:9], 1.0
	v_rcp_f64_e32 v[22:23], v[10:11]
	v_fma_f64 v[24:25], -v[10:11], v[22:23], 1.0
	v_fma_f64 v[22:23], v[22:23], v[24:25], v[22:23]
	v_fma_f64 v[24:25], -v[10:11], v[22:23], 1.0
	v_fma_f64 v[22:23], v[22:23], v[24:25], v[22:23]
	v_div_scale_f64 v[24:25], vcc_lo, 1.0, v[8:9], 1.0
	v_mul_f64 v[26:27], v[24:25], v[22:23]
	v_fma_f64 v[10:11], -v[10:11], v[26:27], v[24:25]
	v_div_fmas_f64 v[10:11], v[10:11], v[22:23], v[26:27]
	v_div_fixup_f64 v[8:9], v[10:11], v[8:9], 1.0
	v_mul_f64 v[6:7], v[6:7], v[8:9]
.LBB20_109:                             ;   in Loop: Header=BB20_11 Depth=1
	v_mul_f64 v[10:11], v[2:3], v[8:9]
	v_fma_f64 v[4:5], v[4:5], v[6:7], -v[10:11]
	s_branch .LBB20_111
.LBB20_110:                             ;   in Loop: Header=BB20_11 Depth=1
	v_mov_b32_e32 v6, 0
	v_mov_b32_e32 v8, 0
	;; [unrolled: 1-line block ×4, first 2 shown]
.LBB20_111:                             ;   in Loop: Header=BB20_11 Depth=1
	global_store_dwordx2 v1, v[4:5], s[60:61]
	s_clause 0x1
	global_load_dwordx2 v[10:11], v1, s[70:71] offset:-8
	global_load_dwordx2 v[4:5], v1, s[64:65] offset:-8
	s_cmp_eq_u32 s54, 2
	s_waitcnt vmcnt(1)
	v_mul_f64 v[22:23], v[6:7], v[10:11]
	s_waitcnt vmcnt(0)
	v_fma_f64 v[22:23], v[8:9], v[4:5], v[22:23]
	global_store_dwordx2 v1, v[22:23], s[70:71] offset:-8
	s_cbranch_scc0 .LBB20_148
; %bb.112:                              ;   in Loop: Header=BB20_11 Depth=1
	s_and_b32 s4, s74, s57
	v_cndmask_b32_e64 v22, 0, 1, s4
	s_andn2_b32 vcc_lo, exec_lo, s4
	s_cbranch_vccz .LBB20_149
.LBB20_113:                             ;   in Loop: Header=BB20_11 Depth=1
	s_xor_b32 s4, s97, -1
	s_or_b32 s57, s78, s4
	s_and_b32 vcc_lo, exec_lo, s57
	s_cbranch_vccnz .LBB20_115
.LBB20_114:                             ;   in Loop: Header=BB20_11 Depth=1
	s_ashr_i32 s4, s23, 31
	s_add_u32 s58, s58, s23
	s_addc_u32 s59, s59, s4
	s_lshl_b64 s[58:59], s[58:59], 3
	s_add_u32 s24, s24, s58
	s_addc_u32 s25, s25, s59
	s_ashr_i32 s55, s54, 31
	s_lshl_b64 s[58:59], s[54:55], 3
	s_add_u32 s58, s24, s58
	s_addc_u32 s59, s25, s59
	global_store_dwordx2 v1, v[6:7], s[24:25] offset:24
	global_store_dwordx2 v1, v[8:9], s[58:59] offset:24
.LBB20_115:                             ;   in Loop: Header=BB20_11 Depth=1
	v_mul_f64 v[8:9], v[8:9], v[10:11]
	s_cmp_eq_u32 s22, 1
	s_mov_b32 s51, 0
	v_fma_f64 v[4:5], v[6:7], v[4:5], -v[8:9]
	s_cbranch_scc1 .LBB20_151
; %bb.116:                              ;   in Loop: Header=BB20_11 Depth=1
	s_xor_b32 s62, s53, -1
	s_xor_b32 s63, s57, -1
	s_add_i32 s24, s56, s50
	s_add_i32 s51, s22, -1
	s_sub_i32 s56, s56, s52
	s_ashr_i32 s4, s23, 31
	s_ashr_i32 s55, s54, 31
	s_add_u32 s5, s68, s23
	s_addc_u32 s4, s69, s4
	s_ashr_i32 s57, s56, 31
	s_add_u32 s58, s5, s56
	s_addc_u32 s59, s4, s57
	s_mov_b32 s81, s80
	s_lshl_b64 s[58:59], s[58:59], 3
	s_mov_b32 s80, s79
	s_add_u32 s4, s58, s66
	s_addc_u32 s5, s59, s67
	s_lshl_b64 s[58:59], s[54:55], 3
	s_mov_b32 s79, s78
	s_add_u32 s25, s4, s58
	s_addc_u32 s53, s5, s59
	s_add_u32 s64, s84, s25
	s_addc_u32 s65, s85, s53
	s_lshl_b32 s25, s8, 1
	s_mov_b32 s78, s76
	s_add_i32 s54, s25, -2
	s_mov_b32 s76, s93
	s_ashr_i32 s55, s54, 31
	s_mov_b32 s93, s90
	s_lshl_b64 s[54:55], s[54:55], 3
	s_mov_b32 s92, s6
	s_or_b32 s54, s54, 8
	s_add_u32 s68, s84, s4
	s_addc_u32 s69, s85, s5
	s_lshl_b64 s[60:61], s[8:9], 4
	s_mov_b32 s6, s89
	s_add_u32 s4, s60, s66
	s_addc_u32 s5, s61, s67
	s_lshl_b64 s[86:87], s[56:57], 3
	s_mov_b32 s89, s88
	s_add_u32 s4, s4, s86
	s_addc_u32 s5, s5, s87
	s_add_u32 s9, s4, s58
	s_addc_u32 s25, s5, s59
	;; [unrolled: 2-line block ×6, first 2 shown]
	s_mul_i32 s4, s8, 24
	s_lshl_b64 s[56:57], s[56:57], 3
	s_mul_hi_i32 s5, s8, 24
	s_add_u32 s4, s4, s56
	s_addc_u32 s5, s5, s57
	s_ashr_i32 s53, s52, 31
	v_readlane_b32 s25, v32, 2
	s_lshl_b64 s[52:53], s[52:53], 3
	s_sub_u32 s4, s4, s52
	s_subb_u32 s5, s5, s53
	s_add_u32 s31, s25, s4
	v_readlane_b32 s4, v32, 3
	v_readlane_b32 s53, v32, 4
	s_addc_u32 s71, s4, s5
	s_add_u32 s4, s60, s46
	s_addc_u32 s5, s61, s47
	s_add_u32 s25, s4, s86
	;; [unrolled: 2-line block ×3, first 2 shown]
	v_readlane_b32 s25, v32, 5
	s_addc_u32 s99, s25, s52
	s_add_u32 s25, s46, s86
	s_addc_u32 s52, s47, s87
	s_add_u32 s104, s72, s25
	s_addc_u32 vcc_hi, s73, s52
	s_ashr_i32 s25, s24, 31
	s_lshl_b64 s[52:53], s[24:25], 3
	v_readlane_b32 s25, v32, 6
	s_add_u32 s4, s4, s52
	s_addc_u32 s5, s5, s53
	s_mov_b32 s24, 1
	s_add_u32 s25, s25, s4
	v_readlane_b32 s4, v32, 7
	s_addc_u32 s86, s4, s5
	s_add_u32 s4, s46, s52
	s_addc_u32 s5, s47, s53
	s_add_u32 s87, s36, s4
	s_addc_u32 s88, s40, s5
	s_mov_b64 s[52:53], 0
	s_branch .LBB20_118
.LBB20_117:                             ;   in Loop: Header=BB20_118 Depth=2
	v_mul_f64 v[8:9], v[8:9], v[10:11]
	s_add_i32 s24, s24, 1
	s_add_u32 s52, s52, s54
	s_addc_u32 s53, s53, s55
	s_cmp_eq_u32 s22, s24
	v_fma_f64 v[4:5], v[6:7], v[4:5], -v[8:9]
	s_cbranch_scc1 .LBB20_150
.LBB20_118:                             ;   Parent Loop BB20_11 Depth=1
                                        ; =>  This Inner Loop Header: Depth=2
	v_cmp_eq_f64_e32 vcc_lo, 0, v[2:3]
	s_cbranch_vccnz .LBB20_122
; %bb.119:                              ;   in Loop: Header=BB20_118 Depth=2
	v_cmp_neq_f64_e32 vcc_lo, 0, v[4:5]
	s_cbranch_vccz .LBB20_123
; %bb.120:                              ;   in Loop: Header=BB20_118 Depth=2
	v_cmp_ngt_f64_e64 s4, |v[2:3]|, |v[4:5]|
	s_and_b32 vcc_lo, exec_lo, s4
	s_cbranch_vccz .LBB20_124
; %bb.121:                              ;   in Loop: Header=BB20_118 Depth=2
	v_div_scale_f64 v[6:7], null, v[4:5], v[4:5], -v[2:3]
	v_div_scale_f64 v[23:24], vcc_lo, -v[2:3], v[4:5], -v[2:3]
	v_rcp_f64_e32 v[8:9], v[6:7]
	v_fma_f64 v[10:11], -v[6:7], v[8:9], 1.0
	v_fma_f64 v[8:9], v[8:9], v[10:11], v[8:9]
	v_fma_f64 v[10:11], -v[6:7], v[8:9], 1.0
	v_fma_f64 v[8:9], v[8:9], v[10:11], v[8:9]
	v_mul_f64 v[10:11], v[23:24], v[8:9]
	v_fma_f64 v[6:7], -v[6:7], v[10:11], v[23:24]
	v_div_fmas_f64 v[6:7], v[6:7], v[8:9], v[10:11]
	v_div_fixup_f64 v[6:7], v[6:7], v[4:5], -v[2:3]
	v_fma_f64 v[8:9], v[6:7], v[6:7], 1.0
	v_cmp_gt_f64_e32 vcc_lo, 0x10000000, v[8:9]
	s_and_b32 s4, vcc_lo, exec_lo
	s_cselect_b32 s4, 0x100, 0
	v_ldexp_f64 v[8:9], v[8:9], s4
	s_cselect_b32 s4, 0xffffff80, 0
	v_rsq_f64_e32 v[10:11], v[8:9]
	v_cmp_class_f64_e64 vcc_lo, v[8:9], 0x260
	v_mul_f64 v[23:24], v[8:9], v[10:11]
	v_mul_f64 v[10:11], v[10:11], 0.5
	v_fma_f64 v[25:26], -v[10:11], v[23:24], 0.5
	v_fma_f64 v[23:24], v[23:24], v[25:26], v[23:24]
	v_fma_f64 v[10:11], v[10:11], v[25:26], v[10:11]
	v_fma_f64 v[25:26], -v[23:24], v[23:24], v[8:9]
	v_fma_f64 v[23:24], v[25:26], v[10:11], v[23:24]
	v_fma_f64 v[25:26], -v[23:24], v[23:24], v[8:9]
	v_fma_f64 v[10:11], v[25:26], v[10:11], v[23:24]
	v_ldexp_f64 v[10:11], v[10:11], s4
	v_cndmask_b32_e32 v9, v11, v9, vcc_lo
	v_cndmask_b32_e32 v8, v10, v8, vcc_lo
	v_div_scale_f64 v[10:11], null, v[8:9], v[8:9], 1.0
	v_rcp_f64_e32 v[23:24], v[10:11]
	v_fma_f64 v[25:26], -v[10:11], v[23:24], 1.0
	v_fma_f64 v[23:24], v[23:24], v[25:26], v[23:24]
	v_fma_f64 v[25:26], -v[10:11], v[23:24], 1.0
	v_fma_f64 v[23:24], v[23:24], v[25:26], v[23:24]
	v_div_scale_f64 v[25:26], vcc_lo, 1.0, v[8:9], 1.0
	v_mul_f64 v[27:28], v[25:26], v[23:24]
	v_fma_f64 v[10:11], -v[10:11], v[27:28], v[25:26]
	v_div_fmas_f64 v[10:11], v[10:11], v[23:24], v[27:28]
	v_div_fixup_f64 v[8:9], v[10:11], v[8:9], 1.0
	v_mul_f64 v[6:7], v[6:7], v[8:9]
	s_cbranch_execz .LBB20_125
	s_branch .LBB20_126
.LBB20_122:                             ;   in Loop: Header=BB20_118 Depth=2
	v_mov_b32_e32 v8, 0
	v_mov_b32_e32 v6, 0
	;; [unrolled: 1-line block ×4, first 2 shown]
	s_branch .LBB20_128
.LBB20_123:                             ;   in Loop: Header=BB20_118 Depth=2
	v_xor_b32_e32 v3, 0x80000000, v3
                                        ; implicit-def: $vgpr6_vgpr7
                                        ; implicit-def: $vgpr8_vgpr9
	v_mov_b32_e32 v5, v3
	v_mov_b32_e32 v4, v2
	s_cbranch_execnz .LBB20_127
	s_branch .LBB20_128
.LBB20_124:                             ;   in Loop: Header=BB20_118 Depth=2
                                        ; implicit-def: $vgpr6_vgpr7
                                        ; implicit-def: $vgpr8_vgpr9
.LBB20_125:                             ;   in Loop: Header=BB20_118 Depth=2
	v_div_scale_f64 v[6:7], null, v[2:3], v[2:3], -v[4:5]
	v_div_scale_f64 v[23:24], vcc_lo, -v[4:5], v[2:3], -v[4:5]
	v_rcp_f64_e32 v[8:9], v[6:7]
	v_fma_f64 v[10:11], -v[6:7], v[8:9], 1.0
	v_fma_f64 v[8:9], v[8:9], v[10:11], v[8:9]
	v_fma_f64 v[10:11], -v[6:7], v[8:9], 1.0
	v_fma_f64 v[8:9], v[8:9], v[10:11], v[8:9]
	v_mul_f64 v[10:11], v[23:24], v[8:9]
	v_fma_f64 v[6:7], -v[6:7], v[10:11], v[23:24]
	v_div_fmas_f64 v[6:7], v[6:7], v[8:9], v[10:11]
	v_div_fixup_f64 v[8:9], v[6:7], v[2:3], -v[4:5]
	v_fma_f64 v[6:7], v[8:9], v[8:9], 1.0
	v_cmp_gt_f64_e32 vcc_lo, 0x10000000, v[6:7]
	s_and_b32 s4, vcc_lo, exec_lo
	s_cselect_b32 s4, 0x100, 0
	v_ldexp_f64 v[6:7], v[6:7], s4
	s_cselect_b32 s4, 0xffffff80, 0
	v_rsq_f64_e32 v[10:11], v[6:7]
	v_cmp_class_f64_e64 vcc_lo, v[6:7], 0x260
	v_mul_f64 v[23:24], v[6:7], v[10:11]
	v_mul_f64 v[10:11], v[10:11], 0.5
	v_fma_f64 v[25:26], -v[10:11], v[23:24], 0.5
	v_fma_f64 v[23:24], v[23:24], v[25:26], v[23:24]
	v_fma_f64 v[10:11], v[10:11], v[25:26], v[10:11]
	v_fma_f64 v[25:26], -v[23:24], v[23:24], v[6:7]
	v_fma_f64 v[23:24], v[25:26], v[10:11], v[23:24]
	v_fma_f64 v[25:26], -v[23:24], v[23:24], v[6:7]
	v_fma_f64 v[10:11], v[25:26], v[10:11], v[23:24]
	v_ldexp_f64 v[10:11], v[10:11], s4
	v_cndmask_b32_e32 v7, v11, v7, vcc_lo
	v_cndmask_b32_e32 v6, v10, v6, vcc_lo
	v_div_scale_f64 v[10:11], null, v[6:7], v[6:7], 1.0
	v_rcp_f64_e32 v[23:24], v[10:11]
	v_fma_f64 v[25:26], -v[10:11], v[23:24], 1.0
	v_fma_f64 v[23:24], v[23:24], v[25:26], v[23:24]
	v_fma_f64 v[25:26], -v[10:11], v[23:24], 1.0
	v_fma_f64 v[23:24], v[23:24], v[25:26], v[23:24]
	v_div_scale_f64 v[25:26], vcc_lo, 1.0, v[6:7], 1.0
	v_mul_f64 v[27:28], v[25:26], v[23:24]
	v_fma_f64 v[10:11], -v[10:11], v[27:28], v[25:26]
	v_div_fmas_f64 v[10:11], v[10:11], v[23:24], v[27:28]
	v_div_fixup_f64 v[6:7], v[10:11], v[6:7], 1.0
	v_mul_f64 v[8:9], v[8:9], v[6:7]
.LBB20_126:                             ;   in Loop: Header=BB20_118 Depth=2
	v_mul_f64 v[2:3], v[2:3], v[6:7]
	v_fma_f64 v[4:5], v[4:5], v[8:9], -v[2:3]
	s_branch .LBB20_128
.LBB20_127:                             ;   in Loop: Header=BB20_118 Depth=2
	v_mov_b32_e32 v8, 0
	v_mov_b32_e32 v6, 0
	v_mov_b32_e32 v9, 0
	v_mov_b32_e32 v7, 0x3ff00000
.LBB20_128:                             ;   in Loop: Header=BB20_118 Depth=2
	s_add_u32 s56, s104, s52
	s_addc_u32 s57, vcc_hi, s53
	s_add_u32 s58, s87, s52
	s_addc_u32 s59, s88, s53
	global_store_dwordx2 v1, v[4:5], s[56:57]
	s_add_u32 s56, s98, s52
	s_addc_u32 s57, s99, s53
	s_clause 0x1
	global_load_dwordx2 v[4:5], v1, s[56:57]
	global_load_dwordx2 v[2:3], v1, s[58:59]
	s_add_u32 s60, s25, s52
	s_addc_u32 s61, s86, s53
	v_cmp_ne_u32_e32 vcc_lo, 1, v12
	s_and_b32 vcc_lo, exec_lo, vcc_lo
	s_waitcnt vmcnt(1)
	v_mul_f64 v[10:11], v[8:9], v[4:5]
	s_waitcnt vmcnt(0)
	v_fma_f64 v[10:11], v[6:7], v[2:3], v[10:11]
	global_store_dwordx2 v1, v[10:11], s[56:57]
	global_load_dwordx2 v[10:11], v1, s[60:61]
	s_waitcnt vmcnt(0)
	v_mul_f64 v[23:24], v[8:9], v[10:11]
	global_store_dwordx2 v1, v[23:24], s[60:61]
	s_cbranch_vccnz .LBB20_130
; %bb.129:                              ;   in Loop: Header=BB20_118 Depth=2
	s_add_u32 s90, s67, s52
	s_addc_u32 s91, s70, s53
	s_add_u32 s4, s9, s52
	s_addc_u32 s5, s66, s53
	global_store_dwordx2 v1, v[8:9], s[90:91]
	global_store_dwordx2 v1, v[6:7], s[4:5]
.LBB20_130:                             ;   in Loop: Header=BB20_118 Depth=2
	s_andn2_b32 vcc_lo, exec_lo, s62
	s_cbranch_vccnz .LBB20_132
; %bb.131:                              ;   in Loop: Header=BB20_118 Depth=2
	s_add_u32 s4, s68, s52
	s_addc_u32 s5, s69, s53
	s_add_u32 s90, s64, s52
	s_addc_u32 s91, s65, s53
	global_store_dwordx2 v1, v[8:9], s[4:5]
	global_store_dwordx2 v1, v[6:7], s[90:91]
.LBB20_132:                             ;   in Loop: Header=BB20_118 Depth=2
	v_mul_f64 v[4:5], v[6:7], v[4:5]
	v_fma_f64 v[4:5], v[8:9], v[2:3], -v[4:5]
	v_mul_f64 v[2:3], v[10:11], -v[6:7]
	v_cmp_eq_f64_e32 vcc_lo, 0, v[2:3]
	s_cbranch_vccnz .LBB20_136
; %bb.133:                              ;   in Loop: Header=BB20_118 Depth=2
	v_cmp_neq_f64_e32 vcc_lo, 0, v[4:5]
	s_cbranch_vccz .LBB20_137
; %bb.134:                              ;   in Loop: Header=BB20_118 Depth=2
	v_cmp_ngt_f64_e64 s4, |v[2:3]|, |v[4:5]|
	s_and_b32 vcc_lo, exec_lo, s4
	s_cbranch_vccz .LBB20_138
; %bb.135:                              ;   in Loop: Header=BB20_118 Depth=2
	v_div_scale_f64 v[6:7], null, v[4:5], v[4:5], -v[2:3]
	v_rcp_f64_e32 v[8:9], v[6:7]
	v_fma_f64 v[10:11], -v[6:7], v[8:9], 1.0
	v_fma_f64 v[8:9], v[8:9], v[10:11], v[8:9]
	v_fma_f64 v[10:11], -v[6:7], v[8:9], 1.0
	v_fma_f64 v[8:9], v[8:9], v[10:11], v[8:9]
	v_div_scale_f64 v[10:11], vcc_lo, -v[2:3], v[4:5], -v[2:3]
	v_mul_f64 v[23:24], v[10:11], v[8:9]
	v_fma_f64 v[6:7], -v[6:7], v[23:24], v[10:11]
	v_div_fmas_f64 v[6:7], v[6:7], v[8:9], v[23:24]
	v_div_fixup_f64 v[8:9], v[6:7], v[4:5], -v[2:3]
	v_fma_f64 v[6:7], v[8:9], v[8:9], 1.0
	v_cmp_gt_f64_e32 vcc_lo, 0x10000000, v[6:7]
	s_and_b32 s4, vcc_lo, exec_lo
	s_cselect_b32 s4, 0x100, 0
	v_ldexp_f64 v[6:7], v[6:7], s4
	s_cselect_b32 s4, 0xffffff80, 0
	v_rsq_f64_e32 v[10:11], v[6:7]
	v_cmp_class_f64_e64 vcc_lo, v[6:7], 0x260
	v_mul_f64 v[23:24], v[6:7], v[10:11]
	v_mul_f64 v[10:11], v[10:11], 0.5
	v_fma_f64 v[25:26], -v[10:11], v[23:24], 0.5
	v_fma_f64 v[23:24], v[23:24], v[25:26], v[23:24]
	v_fma_f64 v[10:11], v[10:11], v[25:26], v[10:11]
	v_fma_f64 v[25:26], -v[23:24], v[23:24], v[6:7]
	v_fma_f64 v[23:24], v[25:26], v[10:11], v[23:24]
	v_fma_f64 v[25:26], -v[23:24], v[23:24], v[6:7]
	v_fma_f64 v[10:11], v[25:26], v[10:11], v[23:24]
	v_ldexp_f64 v[10:11], v[10:11], s4
	v_cndmask_b32_e32 v7, v11, v7, vcc_lo
	v_cndmask_b32_e32 v6, v10, v6, vcc_lo
	v_div_scale_f64 v[10:11], null, v[6:7], v[6:7], 1.0
	v_rcp_f64_e32 v[23:24], v[10:11]
	v_fma_f64 v[25:26], -v[10:11], v[23:24], 1.0
	v_fma_f64 v[23:24], v[23:24], v[25:26], v[23:24]
	v_fma_f64 v[25:26], -v[10:11], v[23:24], 1.0
	v_fma_f64 v[23:24], v[23:24], v[25:26], v[23:24]
	v_div_scale_f64 v[25:26], vcc_lo, 1.0, v[6:7], 1.0
	v_mul_f64 v[27:28], v[25:26], v[23:24]
	v_fma_f64 v[10:11], -v[10:11], v[27:28], v[25:26]
	v_div_fmas_f64 v[10:11], v[10:11], v[23:24], v[27:28]
	v_div_fixup_f64 v[6:7], v[10:11], v[6:7], 1.0
	v_mul_f64 v[8:9], v[8:9], v[6:7]
	s_cbranch_execz .LBB20_139
	s_branch .LBB20_140
.LBB20_136:                             ;   in Loop: Header=BB20_118 Depth=2
	v_mov_b32_e32 v6, 0
	v_mov_b32_e32 v8, 0
	v_mov_b32_e32 v7, 0x3ff00000
	v_mov_b32_e32 v9, 0
	s_branch .LBB20_142
.LBB20_137:                             ;   in Loop: Header=BB20_118 Depth=2
	v_xor_b32_e32 v5, 0x80000000, v3
	v_mov_b32_e32 v4, v2
                                        ; implicit-def: $vgpr8_vgpr9
                                        ; implicit-def: $vgpr6_vgpr7
	s_cbranch_execnz .LBB20_141
	s_branch .LBB20_142
.LBB20_138:                             ;   in Loop: Header=BB20_118 Depth=2
                                        ; implicit-def: $vgpr8_vgpr9
                                        ; implicit-def: $vgpr6_vgpr7
.LBB20_139:                             ;   in Loop: Header=BB20_118 Depth=2
	v_div_scale_f64 v[6:7], null, v[2:3], v[2:3], -v[4:5]
	v_rcp_f64_e32 v[8:9], v[6:7]
	v_fma_f64 v[10:11], -v[6:7], v[8:9], 1.0
	v_fma_f64 v[8:9], v[8:9], v[10:11], v[8:9]
	v_fma_f64 v[10:11], -v[6:7], v[8:9], 1.0
	v_fma_f64 v[8:9], v[8:9], v[10:11], v[8:9]
	v_div_scale_f64 v[10:11], vcc_lo, -v[4:5], v[2:3], -v[4:5]
	v_mul_f64 v[23:24], v[10:11], v[8:9]
	v_fma_f64 v[6:7], -v[6:7], v[23:24], v[10:11]
	v_div_fmas_f64 v[6:7], v[6:7], v[8:9], v[23:24]
	v_div_fixup_f64 v[6:7], v[6:7], v[2:3], -v[4:5]
	v_fma_f64 v[8:9], v[6:7], v[6:7], 1.0
	v_cmp_gt_f64_e32 vcc_lo, 0x10000000, v[8:9]
	s_and_b32 s4, vcc_lo, exec_lo
	s_cselect_b32 s4, 0x100, 0
	v_ldexp_f64 v[8:9], v[8:9], s4
	s_cselect_b32 s4, 0xffffff80, 0
	v_rsq_f64_e32 v[10:11], v[8:9]
	v_cmp_class_f64_e64 vcc_lo, v[8:9], 0x260
	v_mul_f64 v[23:24], v[8:9], v[10:11]
	v_mul_f64 v[10:11], v[10:11], 0.5
	v_fma_f64 v[25:26], -v[10:11], v[23:24], 0.5
	v_fma_f64 v[23:24], v[23:24], v[25:26], v[23:24]
	v_fma_f64 v[10:11], v[10:11], v[25:26], v[10:11]
	v_fma_f64 v[25:26], -v[23:24], v[23:24], v[8:9]
	v_fma_f64 v[23:24], v[25:26], v[10:11], v[23:24]
	v_fma_f64 v[25:26], -v[23:24], v[23:24], v[8:9]
	v_fma_f64 v[10:11], v[25:26], v[10:11], v[23:24]
	v_ldexp_f64 v[10:11], v[10:11], s4
	v_cndmask_b32_e32 v9, v11, v9, vcc_lo
	v_cndmask_b32_e32 v8, v10, v8, vcc_lo
	v_div_scale_f64 v[10:11], null, v[8:9], v[8:9], 1.0
	v_rcp_f64_e32 v[23:24], v[10:11]
	v_fma_f64 v[25:26], -v[10:11], v[23:24], 1.0
	v_fma_f64 v[23:24], v[23:24], v[25:26], v[23:24]
	v_fma_f64 v[25:26], -v[10:11], v[23:24], 1.0
	v_fma_f64 v[23:24], v[23:24], v[25:26], v[23:24]
	v_div_scale_f64 v[25:26], vcc_lo, 1.0, v[8:9], 1.0
	v_mul_f64 v[27:28], v[25:26], v[23:24]
	v_fma_f64 v[10:11], -v[10:11], v[27:28], v[25:26]
	v_div_fmas_f64 v[10:11], v[10:11], v[23:24], v[27:28]
	v_div_fixup_f64 v[8:9], v[10:11], v[8:9], 1.0
	v_mul_f64 v[6:7], v[6:7], v[8:9]
.LBB20_140:                             ;   in Loop: Header=BB20_118 Depth=2
	v_mul_f64 v[10:11], v[2:3], v[8:9]
	v_fma_f64 v[4:5], v[4:5], v[6:7], -v[10:11]
	s_branch .LBB20_142
.LBB20_141:                             ;   in Loop: Header=BB20_118 Depth=2
	v_mov_b32_e32 v6, 0
	v_mov_b32_e32 v8, 0
	;; [unrolled: 1-line block ×4, first 2 shown]
.LBB20_142:                             ;   in Loop: Header=BB20_118 Depth=2
	global_store_dwordx2 v1, v[4:5], s[58:59]
	s_clause 0x1
	global_load_dwordx2 v[10:11], v1, s[60:61]
	global_load_dwordx2 v[4:5], v1, s[56:57]
	s_cmp_ge_i32 s24, s51
	s_waitcnt vmcnt(1)
	v_mul_f64 v[23:24], v[6:7], v[10:11]
	s_waitcnt vmcnt(0)
	v_fma_f64 v[23:24], v[8:9], v[4:5], v[23:24]
	global_store_dwordx2 v1, v[23:24], s[60:61]
	s_cbranch_scc0 .LBB20_145
; %bb.143:                              ;   in Loop: Header=BB20_118 Depth=2
	v_cmp_ne_u32_e32 vcc_lo, 1, v22
	s_cbranch_vccz .LBB20_146
.LBB20_144:                             ;   in Loop: Header=BB20_118 Depth=2
	s_andn2_b32 vcc_lo, exec_lo, s63
	s_cbranch_vccnz .LBB20_117
	s_branch .LBB20_147
.LBB20_145:                             ;   in Loop: Header=BB20_118 Depth=2
	s_add_u32 s4, s31, s52
	s_addc_u32 s5, s71, s53
	global_load_dwordx2 v[2:3], v1, s[4:5]
	s_waitcnt vmcnt(0)
	v_mul_f64 v[23:24], v[6:7], v[2:3]
	v_mul_f64 v[2:3], v[2:3], -v[8:9]
	global_store_dwordx2 v1, v[23:24], s[4:5]
	v_cmp_ne_u32_e32 vcc_lo, 1, v22
	s_cbranch_vccnz .LBB20_144
.LBB20_146:                             ;   in Loop: Header=BB20_118 Depth=2
	s_add_u32 s4, s67, s52
	s_addc_u32 s5, s70, s53
	s_add_u32 s56, s9, s52
	s_addc_u32 s57, s66, s53
	global_store_dwordx2 v1, v[6:7], s[4:5]
	global_store_dwordx2 v1, v[8:9], s[56:57]
	s_andn2_b32 vcc_lo, exec_lo, s63
	s_cbranch_vccnz .LBB20_117
.LBB20_147:                             ;   in Loop: Header=BB20_118 Depth=2
	s_add_u32 s4, s68, s52
	s_addc_u32 s5, s69, s53
	s_add_u32 s56, s64, s52
	s_addc_u32 s57, s65, s53
	global_store_dwordx2 v1, v[6:7], s[4:5]
	global_store_dwordx2 v1, v[8:9], s[56:57]
	s_branch .LBB20_117
.LBB20_148:                             ;   in Loop: Header=BB20_11 Depth=1
	s_ashr_i32 s51, s50, 31
	s_lshl_b64 s[60:61], s[50:51], 3
	s_add_u32 s60, s64, s60
	s_addc_u32 s61, s65, s61
	global_load_dwordx2 v[2:3], v1, s[60:61] offset:-8
	s_waitcnt vmcnt(0)
	v_mul_f64 v[22:23], v[6:7], v[2:3]
	v_mul_f64 v[2:3], v[2:3], -v[8:9]
	global_store_dwordx2 v1, v[22:23], s[60:61] offset:-8
	s_and_b32 s4, s74, s57
	v_cndmask_b32_e64 v22, 0, 1, s4
	s_andn2_b32 vcc_lo, exec_lo, s4
	s_cbranch_vccnz .LBB20_113
.LBB20_149:                             ;   in Loop: Header=BB20_11 Depth=1
	s_add_u32 s60, s24, s62
	s_addc_u32 s61, s25, s63
	s_ashr_i32 s55, s54, 31
	s_lshl_b64 s[62:63], s[54:55], 3
	s_add_u32 s62, s60, s62
	s_addc_u32 s63, s61, s63
	global_store_dwordx2 v1, v[6:7], s[60:61] offset:24
	global_store_dwordx2 v1, v[8:9], s[62:63] offset:24
	s_xor_b32 s4, s97, -1
	s_or_b32 s57, s78, s4
	s_and_b32 vcc_lo, exec_lo, s57
	s_cbranch_vccz .LBB20_114
	s_branch .LBB20_115
.LBB20_150:                             ;   in Loop: Header=BB20_11 Depth=1
	s_mov_b32 s88, s89
	s_mov_b32 s89, s6
	;; [unrolled: 1-line block ×9, first 2 shown]
.LBB20_151:                             ;   in Loop: Header=BB20_11 Depth=1
	s_and_b32 s4, s97, exec_lo
	s_cselect_b32 s24, s51, 0
	s_ashr_i32 s25, s24, 31
	s_lshl_b64 s[24:25], s[24:25], 3
	s_add_u32 s24, s12, s24
	s_addc_u32 s25, s96, s25
	global_store_dwordx2 v1, v[4:5], s[24:25]
.LBB20_152:                             ;   in Loop: Header=BB20_11 Depth=1
	s_or_b32 exec_lo, exec_lo, s29
	s_andn2_b32 vcc_lo, exec_lo, s79
	s_waitcnt_vscnt null, 0x0
	s_barrier
	buffer_gl0_inv
	s_cbranch_vccz .LBB20_155
; %bb.153:                              ;   in Loop: Header=BB20_11 Depth=1
	s_andn2_b32 vcc_lo, exec_lo, s80
	s_cbranch_vccz .LBB20_161
.LBB20_154:                             ;   in Loop: Header=BB20_11 Depth=1
	s_andn2_b32 vcc_lo, exec_lo, s82
	s_cbranch_vccnz .LBB20_10
	s_branch .LBB20_167
.LBB20_155:                             ;   in Loop: Header=BB20_11 Depth=1
	s_and_saveexec_b32 s24, s89
	s_cbranch_execz .LBB20_160
; %bb.156:                              ;   in Loop: Header=BB20_11 Depth=1
	s_load_dword s56, s[26:27], 0xc
	s_add_u32 s25, s34, s46
	s_addc_u32 s31, s35, s47
	s_add_i32 s4, s22, -1
	s_cmp_eq_u32 s8, 0
	v_mov_b32_e32 v10, v15
	s_cselect_b32 s4, s4, 0
	s_cselect_b32 s12, s22, 0
	s_ashr_i32 s5, s4, 31
	s_ashr_i32 s29, s28, 31
	s_lshl_b64 s[52:53], s[48:49], 3
	s_lshl_b64 s[4:5], s[4:5], 3
	s_ashr_i32 s9, s8, 31
	s_lshl_b64 s[54:55], s[28:29], 3
	v_mov_b32_e32 v11, v0
	v_add_nc_u32_e32 v2, s12, v15
	s_mov_b32 s51, 0
	s_waitcnt lgkmcnt(0)
	s_and_b32 s29, s56, 0xffff
	s_add_u32 s4, s4, s52
	s_addc_u32 s5, s5, s53
	s_add_u32 s52, s4, s54
	s_addc_u32 s53, s5, s55
	s_sub_u32 s52, s52, s46
	s_subb_u32 s53, s53, s47
	s_add_u32 s58, s90, s52
	s_addc_u32 s59, s94, s53
	s_lshl_b32 s52, s8, 1
	s_mul_i32 s60, s15, s29
	s_add_i32 s52, s52, -2
	s_ashr_i32 s53, s52, 31
	s_lshl_b64 s[54:55], s[52:53], 3
	s_or_b32 s54, s54, 8
	s_add_u32 s61, s95, s4
	s_addc_u32 s62, s93, s5
	s_lshl_b64 s[4:5], s[8:9], 1
	s_ashr_i32 s56, s12, 31
	s_add_u32 s9, s4, s12
	s_addc_u32 s63, s5, s56
	s_or_b32 s52, s52, 1
.LBB20_157:                             ;   Parent Loop BB20_11 Depth=1
                                        ; =>  This Loop Header: Depth=2
                                        ;       Child Loop BB20_158 Depth 3
	v_mad_u64_u32 v[3:4], null, v11, s15, s[12:13]
	v_ashrrev_i32_e32 v7, 31, v10
	s_mov_b64 s[56:57], 0
	s_mov_b32 s64, s22
	v_ashrrev_i32_e32 v4, 31, v3
	v_lshlrev_b64 v[3:4], 3, v[3:4]
	v_add_co_u32 v3, vcc_lo, s25, v3
	v_add_co_ci_u32_e64 v4, null, s31, v4, vcc_lo
	v_add_co_u32 v6, vcc_lo, s9, v10
	v_add_co_ci_u32_e64 v7, null, s63, v7, vcc_lo
	global_load_dwordx2 v[4:5], v[3:4], off
	v_ashrrev_i32_e32 v3, 31, v2
	v_lshlrev_b64 v[8:9], 3, v[2:3]
	v_add_co_u32 v3, vcc_lo, s25, v8
	v_add_co_ci_u32_e64 v12, null, s31, v9, vcc_lo
	s_inst_prefetch 0x1
	.p2align	6
.LBB20_158:                             ;   Parent Loop BB20_11 Depth=1
                                        ;     Parent Loop BB20_157 Depth=2
                                        ; =>    This Inner Loop Header: Depth=3
	v_lshlrev_b64 v[8:9], 3, v[6:7]
	s_add_u32 s4, s61, s56
	s_addc_u32 s5, s62, s57
	s_add_u32 s66, s58, s56
	s_addc_u32 s67, s59, s57
	s_add_i32 s64, s64, -1
	v_add_co_u32 v8, vcc_lo, s25, v8
	v_add_co_ci_u32_e64 v9, null, s31, v9, vcc_lo
	s_clause 0x1
	global_load_dwordx2 v[22:23], v1, s[4:5]
	global_load_dwordx2 v[24:25], v1, s[66:67]
	global_load_dwordx2 v[26:27], v[8:9], off offset:-8
	s_waitcnt vmcnt(0)
	v_mul_f64 v[28:29], v[26:27], v[24:25]
	v_mul_f64 v[24:25], v[4:5], v[24:25]
	v_fma_f64 v[28:29], v[4:5], v[22:23], -v[28:29]
	v_fma_f64 v[4:5], v[26:27], v[22:23], v[24:25]
	v_add_co_u32 v22, vcc_lo, v3, s56
	v_add_co_ci_u32_e64 v23, null, s57, v12, vcc_lo
	v_add_co_u32 v6, vcc_lo, v6, s52
	v_add_co_ci_u32_e64 v7, null, s53, v7, vcc_lo
	s_add_u32 s56, s56, s54
	s_addc_u32 s57, s57, s55
	s_cmp_eq_u32 s64, 0
	global_store_dwordx2 v[22:23], v[28:29], off
	s_cbranch_scc0 .LBB20_158
; %bb.159:                              ;   in Loop: Header=BB20_157 Depth=2
	s_inst_prefetch 0x2
	v_add_nc_u32_e32 v11, s29, v11
	v_add_nc_u32_e32 v10, s60, v10
	;; [unrolled: 1-line block ×3, first 2 shown]
	global_store_dwordx2 v[8:9], v[4:5], off offset:-8
	v_cmp_le_i32_e32 vcc_lo, s37, v11
	s_or_b32 s51, vcc_lo, s51
	s_andn2_b32 exec_lo, exec_lo, s51
	s_cbranch_execnz .LBB20_157
.LBB20_160:                             ;   in Loop: Header=BB20_11 Depth=1
	s_or_b32 exec_lo, exec_lo, s24
	s_andn2_b32 vcc_lo, exec_lo, s80
	s_cbranch_vccnz .LBB20_154
.LBB20_161:                             ;   in Loop: Header=BB20_11 Depth=1
	s_and_saveexec_b32 s9, s88
	s_cbranch_execz .LBB20_166
; %bb.162:                              ;   in Loop: Header=BB20_11 Depth=1
	s_load_dword s25, s[26:27], 0xc
	s_mul_i32 s4, s30, s13
	v_mov_b32_e32 v8, v0
	s_ashr_i32 s5, s4, 31
	s_mov_b32 s56, 0
	s_lshl_b64 s[4:5], s[4:5], 3
	s_mul_i32 s57, s13, s50
	s_add_u32 s12, s10, s4
	s_addc_u32 s24, s11, s5
	s_add_i32 s4, s22, -1
	s_cmp_eq_u32 s8, 0
	s_cselect_b32 s51, s22, 0
	s_cselect_b32 s4, s4, 0
	s_ashr_i32 s29, s28, 31
	s_add_i32 s4, s4, s23
	s_lshl_b64 s[30:31], s[28:29], 3
	s_mul_i32 s55, s51, s13
	v_add_nc_u32_e32 v7, s55, v0
	s_waitcnt lgkmcnt(0)
	s_and_b32 s25, s25, 0xffff
	s_sub_u32 s5, s30, s46
	s_subb_u32 s30, s31, s47
	s_add_u32 s29, s5, 40
	s_addc_u32 s54, s30, 0
	s_ashr_i32 s5, s4, 31
	s_lshl_b64 s[30:31], s[48:49], 3
	s_lshl_b64 s[4:5], s[4:5], 3
	s_add_u32 s4, s30, s4
	v_readlane_b32 s30, v32, 8
	s_addc_u32 s5, s31, s5
	s_add_u32 s30, s30, s4
	s_addc_u32 s31, s83, s5
	s_lshl_b32 s5, s8, 1
	s_add_i32 s51, s51, s5
	s_add_i32 s4, s5, -2
	s_add_i32 s51, s51, -1
	s_ashr_i32 s5, s4, 31
	v_mad_u64_u32 v[2:3], null, s13, s51, v[0:1]
	s_lshl_b64 s[52:53], s[4:5], 3
	s_or_b32 s52, s52, 8
.LBB20_163:                             ;   Parent Loop BB20_11 Depth=1
                                        ; =>  This Loop Header: Depth=2
                                        ;       Child Loop BB20_164 Depth 3
	v_add_nc_u32_e32 v3, s55, v8
	s_mov_b32 s58, 0
	s_mov_b64 s[50:51], s[30:31]
	s_mov_b32 s59, s22
	v_ashrrev_i32_e32 v4, 31, v3
	v_lshlrev_b64 v[3:4], 3, v[3:4]
	v_add_co_u32 v3, vcc_lo, s12, v3
	v_add_co_ci_u32_e64 v4, null, s24, v4, vcc_lo
	global_load_dwordx2 v[3:4], v[3:4], off
	s_inst_prefetch 0x1
	.p2align	6
.LBB20_164:                             ;   Parent Loop BB20_11 Depth=1
                                        ;     Parent Loop BB20_163 Depth=2
                                        ; =>    This Inner Loop Header: Depth=3
	v_add_nc_u32_e32 v5, s58, v2
	s_add_u32 s4, s50, s29
	s_addc_u32 s5, s51, s54
	global_load_dwordx2 v[9:10], v1, s[50:51] offset:32
	v_add_nc_u32_e32 v26, s58, v7
	v_ashrrev_i32_e32 v6, 31, v5
	s_add_i32 s59, s59, -1
	s_add_u32 s50, s50, s52
	s_addc_u32 s51, s51, s53
	v_ashrrev_i32_e32 v27, 31, v26
	v_lshlrev_b64 v[5:6], 3, v[5:6]
	s_add_i32 s58, s58, s57
	s_cmp_eq_u32 s59, 0
	v_add_co_u32 v5, vcc_lo, s12, v5
	v_add_co_ci_u32_e64 v6, null, s24, v6, vcc_lo
	global_load_dwordx2 v[11:12], v1, s[4:5]
	global_load_dwordx2 v[22:23], v[5:6], off
	s_waitcnt vmcnt(0)
	v_mul_f64 v[24:25], v[22:23], v[11:12]
	v_mul_f64 v[11:12], v[3:4], v[11:12]
	v_fma_f64 v[24:25], v[3:4], v[9:10], -v[24:25]
	v_fma_f64 v[3:4], v[22:23], v[9:10], v[11:12]
	v_lshlrev_b64 v[9:10], 3, v[26:27]
	v_add_co_u32 v9, vcc_lo, s12, v9
	v_add_co_ci_u32_e64 v10, null, s24, v10, vcc_lo
	global_store_dwordx2 v[9:10], v[24:25], off
	s_cbranch_scc0 .LBB20_164
; %bb.165:                              ;   in Loop: Header=BB20_163 Depth=2
	s_inst_prefetch 0x2
	v_add_nc_u32_e32 v8, s25, v8
	v_add_nc_u32_e32 v7, s25, v7
	;; [unrolled: 1-line block ×3, first 2 shown]
	global_store_dwordx2 v[5:6], v[3:4], off
	v_cmp_le_i32_e32 vcc_lo, s38, v8
	s_or_b32 s56, vcc_lo, s56
	s_andn2_b32 exec_lo, exec_lo, s56
	s_cbranch_execnz .LBB20_163
.LBB20_166:                             ;   in Loop: Header=BB20_11 Depth=1
	s_or_b32 exec_lo, exec_lo, s9
	s_andn2_b32 vcc_lo, exec_lo, s82
	s_cbranch_vccnz .LBB20_10
.LBB20_167:                             ;   in Loop: Header=BB20_11 Depth=1
	s_and_saveexec_b32 s24, s6
	s_cbranch_execz .LBB20_9
; %bb.168:                              ;   in Loop: Header=BB20_11 Depth=1
	s_load_dword s52, s[26:27], 0xc
	s_add_u32 s25, s42, s46
	s_addc_u32 s50, s43, s47
	s_add_i32 s4, s22, -1
	s_cmp_eq_u32 s8, 0
	v_mov_b32_e32 v10, v16
	s_cselect_b32 s4, s4, 0
	s_cselect_b32 s12, s22, 0
	s_add_i32 s4, s4, s23
	s_ashr_i32 s29, s28, 31
	s_ashr_i32 s5, s4, 31
	s_lshl_b64 s[30:31], s[48:49], 3
	s_lshl_b64 s[4:5], s[4:5], 3
	s_ashr_i32 s9, s8, 31
	s_lshl_b64 s[28:29], s[28:29], 3
	v_mov_b32_e32 v11, v0
	v_add_nc_u32_e32 v2, s12, v16
	s_mov_b32 s51, 0
	s_waitcnt lgkmcnt(0)
	s_and_b32 s23, s52, 0xffff
	s_add_u32 s4, s30, s4
	s_addc_u32 s5, s31, s5
	s_add_u32 s28, s4, s28
	s_addc_u32 s29, s5, s29
	s_sub_u32 s28, s28, s46
	s_subb_u32 s29, s29, s47
	s_add_u32 s46, s90, s28
	s_addc_u32 s47, s94, s29
	s_lshl_b32 s28, s8, 1
	s_mul_i32 s48, s41, s23
	s_add_i32 s28, s28, -2
	s_ashr_i32 s29, s28, 31
	s_lshl_b64 s[30:31], s[28:29], 3
	s_or_b32 s30, s30, 8
	s_add_u32 s49, s95, s4
	s_addc_u32 s52, s93, s5
	s_lshl_b64 s[4:5], s[8:9], 1
	s_ashr_i32 s8, s12, 31
	s_add_u32 s53, s4, s12
	s_addc_u32 s54, s5, s8
	s_or_b32 s28, s28, 1
.LBB20_169:                             ;   Parent Loop BB20_11 Depth=1
                                        ; =>  This Loop Header: Depth=2
                                        ;       Child Loop BB20_170 Depth 3
	v_mad_u64_u32 v[3:4], null, v11, s41, s[12:13]
	v_ashrrev_i32_e32 v7, 31, v10
	s_mov_b64 s[8:9], 0
	s_mov_b32 s55, s22
	v_ashrrev_i32_e32 v4, 31, v3
	v_lshlrev_b64 v[3:4], 3, v[3:4]
	v_add_co_u32 v3, vcc_lo, s25, v3
	v_add_co_ci_u32_e64 v4, null, s50, v4, vcc_lo
	v_add_co_u32 v6, vcc_lo, s53, v10
	v_add_co_ci_u32_e64 v7, null, s54, v7, vcc_lo
	global_load_dwordx2 v[4:5], v[3:4], off
	v_ashrrev_i32_e32 v3, 31, v2
	v_lshlrev_b64 v[8:9], 3, v[2:3]
	v_add_co_u32 v3, vcc_lo, s25, v8
	v_add_co_ci_u32_e64 v12, null, s50, v9, vcc_lo
	s_inst_prefetch 0x1
	.p2align	6
.LBB20_170:                             ;   Parent Loop BB20_11 Depth=1
                                        ;     Parent Loop BB20_169 Depth=2
                                        ; =>    This Inner Loop Header: Depth=3
	v_lshlrev_b64 v[8:9], 3, v[6:7]
	s_add_u32 s4, s49, s8
	s_addc_u32 s5, s52, s9
	s_add_u32 s56, s46, s8
	s_addc_u32 s57, s47, s9
	s_add_i32 s55, s55, -1
	v_add_co_u32 v8, vcc_lo, s25, v8
	v_add_co_ci_u32_e64 v9, null, s50, v9, vcc_lo
	s_clause 0x1
	global_load_dwordx2 v[22:23], v1, s[4:5]
	global_load_dwordx2 v[24:25], v1, s[56:57]
	global_load_dwordx2 v[26:27], v[8:9], off offset:-8
	s_waitcnt vmcnt(0)
	v_mul_f64 v[28:29], v[26:27], v[24:25]
	v_mul_f64 v[24:25], v[4:5], v[24:25]
	v_fma_f64 v[28:29], v[4:5], v[22:23], -v[28:29]
	v_fma_f64 v[4:5], v[26:27], v[22:23], v[24:25]
	v_add_co_u32 v22, vcc_lo, v3, s8
	v_add_co_ci_u32_e64 v23, null, s9, v12, vcc_lo
	v_add_co_u32 v6, vcc_lo, v6, s28
	v_add_co_ci_u32_e64 v7, null, s29, v7, vcc_lo
	s_add_u32 s8, s8, s30
	s_addc_u32 s9, s9, s31
	s_cmp_eq_u32 s55, 0
	global_store_dwordx2 v[22:23], v[28:29], off
	s_cbranch_scc0 .LBB20_170
; %bb.171:                              ;   in Loop: Header=BB20_169 Depth=2
	s_inst_prefetch 0x2
	v_add_nc_u32_e32 v11, s23, v11
	v_add_nc_u32_e32 v10, s48, v10
	;; [unrolled: 1-line block ×3, first 2 shown]
	global_store_dwordx2 v[8:9], v[4:5], off offset:-8
	v_cmp_le_i32_e32 vcc_lo, s39, v11
	s_or_b32 s51, vcc_lo, s51
	s_andn2_b32 exec_lo, exec_lo, s51
	s_cbranch_execnz .LBB20_169
	s_branch .LBB20_9
.LBB20_172:
	s_endpgm
	.section	.rodata,"a",@progbits
	.p2align	6, 0x0
	.amdhsa_kernel _ZN9rocsolver6v33100L13bdsqr_computeILi256EddPdS2_S2_EEviiiiPT1_lS4_lT2_iilT3_iilT4_iiliS3_S3_S3_S3_PiS4_ilS8_
		.amdhsa_group_segment_fixed_size 2072
		.amdhsa_private_segment_fixed_size 0
		.amdhsa_kernarg_size 456
		.amdhsa_user_sgpr_count 6
		.amdhsa_user_sgpr_private_segment_buffer 1
		.amdhsa_user_sgpr_dispatch_ptr 0
		.amdhsa_user_sgpr_queue_ptr 0
		.amdhsa_user_sgpr_kernarg_segment_ptr 1
		.amdhsa_user_sgpr_dispatch_id 0
		.amdhsa_user_sgpr_flat_scratch_init 0
		.amdhsa_user_sgpr_private_segment_size 0
		.amdhsa_wavefront_size32 1
		.amdhsa_uses_dynamic_stack 0
		.amdhsa_system_sgpr_private_segment_wavefront_offset 0
		.amdhsa_system_sgpr_workgroup_id_x 1
		.amdhsa_system_sgpr_workgroup_id_y 1
		.amdhsa_system_sgpr_workgroup_id_z 1
		.amdhsa_system_sgpr_workgroup_info 0
		.amdhsa_system_vgpr_workitem_id 0
		.amdhsa_next_free_vgpr 33
		.amdhsa_next_free_sgpr 105
		.amdhsa_reserve_vcc 1
		.amdhsa_reserve_flat_scratch 0
		.amdhsa_float_round_mode_32 0
		.amdhsa_float_round_mode_16_64 0
		.amdhsa_float_denorm_mode_32 3
		.amdhsa_float_denorm_mode_16_64 3
		.amdhsa_dx10_clamp 1
		.amdhsa_ieee_mode 1
		.amdhsa_fp16_overflow 0
		.amdhsa_workgroup_processor_mode 1
		.amdhsa_memory_ordered 1
		.amdhsa_forward_progress 1
		.amdhsa_shared_vgpr_count 0
		.amdhsa_exception_fp_ieee_invalid_op 0
		.amdhsa_exception_fp_denorm_src 0
		.amdhsa_exception_fp_ieee_div_zero 0
		.amdhsa_exception_fp_ieee_overflow 0
		.amdhsa_exception_fp_ieee_underflow 0
		.amdhsa_exception_fp_ieee_inexact 0
		.amdhsa_exception_int_div_zero 0
	.end_amdhsa_kernel
	.section	.text._ZN9rocsolver6v33100L13bdsqr_computeILi256EddPdS2_S2_EEviiiiPT1_lS4_lT2_iilT3_iilT4_iiliS3_S3_S3_S3_PiS4_ilS8_,"axG",@progbits,_ZN9rocsolver6v33100L13bdsqr_computeILi256EddPdS2_S2_EEviiiiPT1_lS4_lT2_iilT3_iilT4_iiliS3_S3_S3_S3_PiS4_ilS8_,comdat
.Lfunc_end20:
	.size	_ZN9rocsolver6v33100L13bdsqr_computeILi256EddPdS2_S2_EEviiiiPT1_lS4_lT2_iilT3_iilT4_iiliS3_S3_S3_S3_PiS4_ilS8_, .Lfunc_end20-_ZN9rocsolver6v33100L13bdsqr_computeILi256EddPdS2_S2_EEviiiiPT1_lS4_lT2_iilT3_iilT4_iiliS3_S3_S3_S3_PiS4_ilS8_
                                        ; -- End function
	.set _ZN9rocsolver6v33100L13bdsqr_computeILi256EddPdS2_S2_EEviiiiPT1_lS4_lT2_iilT3_iilT4_iiliS3_S3_S3_S3_PiS4_ilS8_.num_vgpr, 33
	.set _ZN9rocsolver6v33100L13bdsqr_computeILi256EddPdS2_S2_EEviiiiPT1_lS4_lT2_iilT3_iilT4_iiliS3_S3_S3_S3_PiS4_ilS8_.num_agpr, 0
	.set _ZN9rocsolver6v33100L13bdsqr_computeILi256EddPdS2_S2_EEviiiiPT1_lS4_lT2_iilT3_iilT4_iiliS3_S3_S3_S3_PiS4_ilS8_.numbered_sgpr, 105
	.set _ZN9rocsolver6v33100L13bdsqr_computeILi256EddPdS2_S2_EEviiiiPT1_lS4_lT2_iilT3_iilT4_iiliS3_S3_S3_S3_PiS4_ilS8_.num_named_barrier, 0
	.set _ZN9rocsolver6v33100L13bdsqr_computeILi256EddPdS2_S2_EEviiiiPT1_lS4_lT2_iilT3_iilT4_iiliS3_S3_S3_S3_PiS4_ilS8_.private_seg_size, 0
	.set _ZN9rocsolver6v33100L13bdsqr_computeILi256EddPdS2_S2_EEviiiiPT1_lS4_lT2_iilT3_iilT4_iiliS3_S3_S3_S3_PiS4_ilS8_.uses_vcc, 1
	.set _ZN9rocsolver6v33100L13bdsqr_computeILi256EddPdS2_S2_EEviiiiPT1_lS4_lT2_iilT3_iilT4_iiliS3_S3_S3_S3_PiS4_ilS8_.uses_flat_scratch, 0
	.set _ZN9rocsolver6v33100L13bdsqr_computeILi256EddPdS2_S2_EEviiiiPT1_lS4_lT2_iilT3_iilT4_iiliS3_S3_S3_S3_PiS4_ilS8_.has_dyn_sized_stack, 0
	.set _ZN9rocsolver6v33100L13bdsqr_computeILi256EddPdS2_S2_EEviiiiPT1_lS4_lT2_iilT3_iilT4_iiliS3_S3_S3_S3_PiS4_ilS8_.has_recursion, 0
	.set _ZN9rocsolver6v33100L13bdsqr_computeILi256EddPdS2_S2_EEviiiiPT1_lS4_lT2_iilT3_iilT4_iiliS3_S3_S3_S3_PiS4_ilS8_.has_indirect_call, 0
	.section	.AMDGPU.csdata,"",@progbits
; Kernel info:
; codeLenInByte = 9620
; TotalNumSgprs: 107
; NumVgprs: 33
; ScratchSize: 0
; MemoryBound: 0
; FloatMode: 240
; IeeeMode: 1
; LDSByteSize: 2072 bytes/workgroup (compile time only)
; SGPRBlocks: 0
; VGPRBlocks: 4
; NumSGPRsForWavesPerEU: 107
; NumVGPRsForWavesPerEU: 33
; Occupancy: 16
; WaveLimiterHint : 1
; COMPUTE_PGM_RSRC2:SCRATCH_EN: 0
; COMPUTE_PGM_RSRC2:USER_SGPR: 6
; COMPUTE_PGM_RSRC2:TRAP_HANDLER: 0
; COMPUTE_PGM_RSRC2:TGID_X_EN: 1
; COMPUTE_PGM_RSRC2:TGID_Y_EN: 1
; COMPUTE_PGM_RSRC2:TGID_Z_EN: 1
; COMPUTE_PGM_RSRC2:TIDIG_COMP_CNT: 0
	.section	.text._ZN9rocsolver6v33100L12bdsqr_rotateIddPdS2_S2_EEviiiiT1_iilT2_iilT3_iiliPiPT0_ilS6_,"axG",@progbits,_ZN9rocsolver6v33100L12bdsqr_rotateIddPdS2_S2_EEviiiiT1_iilT2_iilT3_iiliPiPT0_ilS6_,comdat
	.globl	_ZN9rocsolver6v33100L12bdsqr_rotateIddPdS2_S2_EEviiiiT1_iilT2_iilT3_iiliPiPT0_ilS6_ ; -- Begin function _ZN9rocsolver6v33100L12bdsqr_rotateIddPdS2_S2_EEviiiiT1_iilT2_iilT3_iiliPiPT0_ilS6_
	.p2align	8
	.type	_ZN9rocsolver6v33100L12bdsqr_rotateIddPdS2_S2_EEviiiiT1_iilT2_iilT3_iiliPiPT0_ilS6_,@function
_ZN9rocsolver6v33100L12bdsqr_rotateIddPdS2_S2_EEviiiiT1_iilT2_iilT3_iiliPiPT0_ilS6_: ; @_ZN9rocsolver6v33100L12bdsqr_rotateIddPdS2_S2_EEviiiiT1_iilT2_iilT3_iiliPiPT0_ilS6_
; %bb.0:
	s_load_dwordx4 s[0:3], s[4:5], 0x78
	s_ashr_i32 s9, s8, 31
	s_lshl_b64 s[10:11], s[8:9], 2
	s_waitcnt lgkmcnt(0)
	s_add_u32 s2, s2, s10
	s_addc_u32 s3, s3, s11
	s_load_dword s2, s[2:3], 0x8
	s_waitcnt lgkmcnt(0)
	s_cmp_lg_u32 s2, 0
	s_cbranch_scc1 .LBB21_25
; %bb.1:
	s_load_dwordx8 s[12:19], s[4:5], 0x10
	s_add_u32 s24, s4, 0x88
	s_addc_u32 s25, s5, 0
	s_mov_b64 s[2:3], 0
	s_mov_b64 s[10:11], 0
	s_waitcnt lgkmcnt(0)
	s_cmp_eq_u64 s[12:13], 0
	s_cbranch_scc1 .LBB21_3
; %bb.2:
	s_mul_i32 s10, s16, s9
	s_mul_hi_u32 s11, s16, s8
	s_mul_i32 s17, s17, s8
	s_add_i32 s10, s11, s10
	s_add_i32 s11, s10, s17
	s_mul_i32 s10, s16, s8
	s_ashr_i32 s17, s14, 31
	s_lshl_b64 s[10:11], s[10:11], 3
	s_mov_b32 s16, s14
	s_add_u32 s12, s12, s10
	s_addc_u32 s13, s13, s11
	s_lshl_b64 s[10:11], s[16:17], 3
	s_add_u32 s10, s12, s10
	s_addc_u32 s11, s13, s11
.LBB21_3:
	s_clause 0x1
	s_load_dwordx2 s[12:13], s[4:5], 0x30
	s_load_dwordx4 s[20:23], s[4:5], 0x38
	s_cmp_eq_u64 s[18:19], 0
	s_cbranch_scc1 .LBB21_5
; %bb.4:
	s_waitcnt lgkmcnt(0)
	s_mul_i32 s2, s20, s9
	s_mul_hi_u32 s3, s20, s8
	s_mul_i32 s14, s21, s8
	s_add_i32 s2, s3, s2
	s_ashr_i32 s17, s12, 31
	s_add_i32 s3, s2, s14
	s_mul_i32 s2, s20, s8
	s_mov_b32 s16, s12
	s_lshl_b64 s[2:3], s[2:3], 3
	s_add_u32 s12, s18, s2
	s_addc_u32 s14, s19, s3
	s_lshl_b64 s[2:3], s[16:17], 3
	s_add_u32 s2, s12, s2
	s_addc_u32 s3, s14, s3
.LBB21_5:
	s_load_dwordx2 s[26:27], s[4:5], 0x48
	s_waitcnt lgkmcnt(0)
	s_cmp_eq_u64 s[22:23], 0
	s_mov_b64 s[20:21], 0
	s_cbranch_scc1 .LBB21_7
; %bb.6:
	s_load_dwordx2 s[16:17], s[4:5], 0x50
	s_ashr_i32 s19, s26, 31
	s_mov_b32 s18, s26
	s_waitcnt lgkmcnt(0)
	s_mul_i32 s12, s16, s9
	s_mul_hi_u32 s14, s16, s8
	s_mul_i32 s17, s17, s8
	s_add_i32 s12, s14, s12
	s_mul_i32 s16, s16, s8
	s_add_i32 s17, s12, s17
	s_lshl_b64 s[16:17], s[16:17], 3
	s_add_u32 s12, s22, s16
	s_addc_u32 s14, s23, s17
	s_lshl_b64 s[16:17], s[18:19], 3
	s_add_u32 s20, s12, s16
	s_addc_u32 s21, s14, s17
.LBB21_7:
	s_load_dwordx4 s[16:19], s[4:5], 0x60
	s_mul_i32 s9, s0, s9
	s_mul_hi_u32 s12, s0, s8
	s_mul_i32 s1, s1, s8
	s_add_i32 s9, s12, s9
	s_mul_i32 s0, s0, s8
	s_add_i32 s1, s9, s1
	s_lshl_b64 s[22:23], s[0:1], 3
	s_waitcnt lgkmcnt(0)
	s_add_u32 s0, s18, s22
	s_addc_u32 s1, s19, s23
	s_load_dwordx2 s[0:1], s[0:1], 0x10
	s_waitcnt lgkmcnt(0)
	v_cvt_i32_f64_e32 v7, s[0:1]
	v_cmp_ge_i32_e32 vcc_lo, s7, v7
	s_cbranch_vccnz .LBB21_25
; %bb.8:
	s_clause 0x3
	s_load_dwordx4 s[36:39], s[4:5], 0x0
	s_load_dword s9, s[4:5], 0x94
	s_load_dword s12, s[4:5], 0x58
	;; [unrolled: 1-line block ×4, first 2 shown]
	v_mov_b32_e32 v10, 0
	s_waitcnt lgkmcnt(0)
	s_mul_i32 s0, s8, s36
	s_lshl_b32 s0, s0, 1
	s_ashr_i32 s1, s0, 31
	s_lshl_b64 s[0:1], s[0:1], 2
	s_add_u32 s28, s16, s0
	s_addc_u32 s29, s17, s1
	s_and_b32 s0, 0xffff, s9
	s_cmp_eq_u32 s37, 0
	v_mad_u64_u32 v[0:1], null, s6, s0, v[0:1]
	s_cselect_b32 s6, -1, 0
	s_cmp_lg_u64 s[10:11], 0
	s_cselect_b32 s1, -1, 0
	v_cmp_gt_i32_e32 vcc_lo, s37, v0
	v_cmp_gt_i32_e64 s0, s38, v0
	v_mul_lo_u32 v8, v0, s15
	v_mul_lo_u32 v9, v0, s27
	s_and_b32 s25, vcc_lo, s1
	s_cmp_lg_u64 s[2:3], 0
	v_cmp_gt_i32_e32 vcc_lo, s39, v0
	s_cselect_b32 s1, -1, 0
	s_and_b32 s30, s0, s1
	s_cmp_lg_u64 s[20:21], 0
	s_cselect_b32 s0, -1, 0
	s_and_b32 s27, vcc_lo, s0
	s_add_u32 s22, s18, s22
	s_addc_u32 s23, s19, s23
	s_add_u32 s31, s22, 40
	s_addc_u32 s33, s23, 0
	;; [unrolled: 2-line block ×3, first 2 shown]
	s_branch .LBB21_12
.LBB21_9:                               ;   in Loop: Header=BB21_12 Depth=1
	s_inst_prefetch 0x2
	v_sub_co_u32 v3, vcc_lo, v5, s4
	v_subrev_co_ci_u32_e64 v4, null, s5, v6, vcc_lo
	v_add_co_u32 v3, vcc_lo, s20, v3
	v_add_co_ci_u32_e64 v4, null, s21, v4, vcc_lo
	v_add_co_u32 v3, vcc_lo, v3, s8
	v_add_co_ci_u32_e64 v4, null, s9, v4, vcc_lo
	global_store_dwordx2 v[3:4], v[1:2], off
.LBB21_10:                              ;   in Loop: Header=BB21_12 Depth=1
	s_or_b32 exec_lo, exec_lo, s16
.LBB21_11:                              ;   in Loop: Header=BB21_12 Depth=1
	s_add_i32 s7, s24, s7
	v_cmp_lt_i32_e32 vcc_lo, s7, v7
	s_cbranch_vccz .LBB21_25
.LBB21_12:                              ; =>This Loop Header: Depth=1
                                        ;     Child Loop BB21_16 Depth 2
                                        ;     Child Loop BB21_20 Depth 2
	;; [unrolled: 1-line block ×3, first 2 shown]
	s_lshl_b32 s0, s7, 2
	s_ashr_i32 s1, s0, 31
	s_lshl_b64 s[0:1], s[0:1], 2
	s_add_u32 s0, s28, s0
	s_addc_u32 s1, s29, s1
	s_clause 0x1
	s_load_dwordx2 s[4:5], s[0:1], 0x0
	s_load_dword s14, s[0:1], 0x8
	s_waitcnt lgkmcnt(0)
	s_cmp_le_i32 s14, s5
	s_cbranch_scc1 .LBB21_11
; %bb.13:                               ;   in Loop: Header=BB21_12 Depth=1
	s_load_dword s0, s[0:1], 0xc
	s_waitcnt lgkmcnt(0)
	s_cmp_lt_i32 s0, s12
	s_cselect_b32 s0, -1, 0
	s_cmp_lg_u32 s4, 0
	s_cselect_b32 s1, -1, 0
	s_and_b32 s0, s0, s1
	s_andn2_b32 vcc_lo, exec_lo, s0
	s_cbranch_vccnz .LBB21_11
; %bb.14:                               ;   in Loop: Header=BB21_12 Depth=1
	s_mul_i32 s8, s5, s26
	s_ashr_i32 s9, s8, 31
	s_cmp_gt_i32 s4, 0
	s_cselect_b32 s36, -1, 0
	s_sub_i32 s0, s14, s5
	s_and_saveexec_b32 s1, s25
	s_cbranch_execz .LBB21_18
; %bb.15:                               ;   in Loop: Header=BB21_12 Depth=1
	s_and_b32 s15, s36, exec_lo
	s_cselect_b32 s15, s5, s14
	s_mov_b32 s40, s0
	v_add_nc_u32_e32 v5, s15, v8
	s_add_i32 s15, s0, -1
	s_and_b32 s16, s36, exec_lo
	s_cselect_b32 s16, 0, s15
	s_ashr_i32 s15, s14, 31
	v_ashrrev_i32_e32 v6, 31, v5
	s_ashr_i32 s17, s16, 31
	s_lshl_b64 s[18:19], s[8:9], 3
	s_lshl_b64 s[16:17], s[16:17], 3
	;; [unrolled: 1-line block ×3, first 2 shown]
	v_lshlrev_b64 v[1:2], 3, v[5:6]
	v_add_nc_u32_e32 v5, s4, v5
	s_add_u32 s18, s16, s18
	s_addc_u32 s19, s17, s19
	s_add_u32 s15, s18, s38
	s_addc_u32 s37, s19, s39
	v_add_co_u32 v3, vcc_lo, s10, v1
	v_add_co_ci_u32_e64 v4, null, s11, v2, vcc_lo
	v_ashrrev_i32_e32 v6, 31, v5
	s_ashr_i32 s17, s5, 31
	s_mov_b32 s16, s5
	global_load_dwordx2 v[1:2], v[3:4], off
	s_lshl_b64 s[16:17], s[16:17], 3
	v_lshlrev_b64 v[5:6], 3, v[5:6]
	s_sub_u32 s15, s15, s16
	s_subb_u32 s16, s37, s17
	s_add_u32 s15, s31, s15
	s_addc_u32 s37, s33, s16
	s_ashr_i32 s17, s4, 31
	v_add_co_u32 v11, vcc_lo, s10, v5
	s_mov_b32 s16, s4
	v_add_co_ci_u32_e64 v12, null, s11, v6, vcc_lo
	s_lshl_b64 s[16:17], s[16:17], 3
	s_add_u32 s38, s34, s18
	s_addc_u32 s39, s35, s19
	s_mov_b64 s[18:19], 0
	s_inst_prefetch 0x1
	.p2align	6
.LBB21_16:                              ;   Parent Loop BB21_12 Depth=1
                                        ; =>  This Inner Loop Header: Depth=2
	v_add_co_u32 v13, vcc_lo, v11, s18
	v_add_co_ci_u32_e64 v14, null, s19, v12, vcc_lo
	s_add_u32 s42, s38, s18
	s_addc_u32 s43, s39, s19
	s_add_u32 s44, s15, s18
	s_addc_u32 s45, s37, s19
	global_load_dwordx2 v[15:16], v10, s[42:43]
	global_load_dwordx2 v[13:14], v[13:14], off
	global_load_dwordx2 v[17:18], v10, s[44:45]
	s_add_i32 s40, s40, -1
	s_waitcnt vmcnt(0)
	v_mul_f64 v[19:20], v[13:14], v[17:18]
	v_mul_f64 v[17:18], v[1:2], v[17:18]
	v_fma_f64 v[19:20], v[1:2], v[15:16], -v[19:20]
	v_fma_f64 v[1:2], v[13:14], v[15:16], v[17:18]
	v_add_co_u32 v13, vcc_lo, v3, s18
	v_add_co_ci_u32_e64 v14, null, s19, v4, vcc_lo
	s_add_u32 s18, s18, s16
	s_addc_u32 s19, s19, s17
	s_cmp_eq_u32 s40, 0
	global_store_dwordx2 v[13:14], v[19:20], off
	s_cbranch_scc0 .LBB21_16
; %bb.17:                               ;   in Loop: Header=BB21_12 Depth=1
	s_inst_prefetch 0x2
	v_sub_co_u32 v3, vcc_lo, v5, s16
	v_subrev_co_ci_u32_e64 v4, null, s17, v6, vcc_lo
	v_add_co_u32 v3, vcc_lo, s10, v3
	v_add_co_ci_u32_e64 v4, null, s11, v4, vcc_lo
	v_add_co_u32 v3, vcc_lo, v3, s18
	v_add_co_ci_u32_e64 v4, null, s19, v4, vcc_lo
	global_store_dwordx2 v[3:4], v[1:2], off
.LBB21_18:                              ;   in Loop: Header=BB21_12 Depth=1
	s_or_b32 exec_lo, exec_lo, s1
	s_lshl_b32 s1, s0, 1
	s_add_i32 s1, s1, 2
	s_and_b32 s15, s6, exec_lo
	s_cselect_b32 s15, 0, s1
	s_and_saveexec_b32 s37, s30
	s_cbranch_execz .LBB21_22
; %bb.19:                               ;   in Loop: Header=BB21_12 Depth=1
	s_and_b32 s1, s36, exec_lo
	s_cselect_b32 s40, s5, s14
	s_add_i32 s1, s0, -1
	s_mul_i32 s38, s40, s13
	s_and_b32 s16, s36, exec_lo
	v_add_nc_u32_e32 v1, s38, v0
	s_cselect_b32 s18, 0, s1
	s_ashr_i32 s1, s0, 31
	s_add_i32 s18, s15, s18
	s_lshl_b64 s[16:17], s[0:1], 3
	v_ashrrev_i32_e32 v2, 31, v1
	s_add_u32 s1, s16, 40
	s_addc_u32 s39, s17, 0
	s_ashr_i32 s19, s18, 31
	s_lshl_b64 s[16:17], s[8:9], 3
	v_lshlrev_b64 v[1:2], 3, v[1:2]
	s_lshl_b64 s[18:19], s[18:19], 3
	v_mov_b32_e32 v5, v0
	s_add_u32 s16, s16, s18
	s_addc_u32 s17, s17, s19
	s_add_u32 s16, s22, s16
	v_add_co_u32 v1, vcc_lo, s2, v1
	v_add_co_ci_u32_e64 v2, null, s3, v2, vcc_lo
	s_addc_u32 s17, s23, s17
	s_ashr_i32 s19, s4, 31
	s_mov_b32 s18, s4
	global_load_dwordx2 v[1:2], v[1:2], off
	s_add_i32 s40, s40, s4
	s_lshl_b64 s[18:19], s[18:19], 3
	s_mul_i32 s40, s13, s40
	s_mul_i32 s41, s13, s4
	s_mov_b32 s42, s0
	s_inst_prefetch 0x1
	.p2align	6
.LBB21_20:                              ;   Parent Loop BB21_12 Depth=1
                                        ; =>  This Inner Loop Header: Depth=2
	v_add_nc_u32_e32 v3, s40, v5
	s_add_u32 s44, s16, s1
	s_addc_u32 s45, s17, s39
	global_load_dwordx2 v[11:12], v10, s[16:17] offset:32
	v_add_nc_u32_e32 v19, s38, v5
	v_ashrrev_i32_e32 v4, 31, v3
	v_add_nc_u32_e32 v5, s41, v5
	s_add_i32 s42, s42, -1
	s_add_u32 s16, s16, s18
	v_ashrrev_i32_e32 v20, 31, v19
	v_lshlrev_b64 v[3:4], 3, v[3:4]
	s_addc_u32 s17, s17, s19
	s_cmp_eq_u32 s42, 0
	v_add_co_u32 v3, vcc_lo, s2, v3
	v_add_co_ci_u32_e64 v4, null, s3, v4, vcc_lo
	global_load_dwordx2 v[13:14], v10, s[44:45]
	global_load_dwordx2 v[15:16], v[3:4], off
	s_waitcnt vmcnt(0)
	v_mul_f64 v[17:18], v[15:16], v[13:14]
	v_mul_f64 v[13:14], v[1:2], v[13:14]
	v_fma_f64 v[17:18], v[1:2], v[11:12], -v[17:18]
	v_fma_f64 v[1:2], v[15:16], v[11:12], v[13:14]
	v_lshlrev_b64 v[11:12], 3, v[19:20]
	v_add_co_u32 v11, vcc_lo, s2, v11
	v_add_co_ci_u32_e64 v12, null, s3, v12, vcc_lo
	global_store_dwordx2 v[11:12], v[17:18], off
	s_cbranch_scc0 .LBB21_20
; %bb.21:                               ;   in Loop: Header=BB21_12 Depth=1
	s_inst_prefetch 0x2
	global_store_dwordx2 v[3:4], v[1:2], off
.LBB21_22:                              ;   in Loop: Header=BB21_12 Depth=1
	s_or_b32 exec_lo, exec_lo, s37
	s_and_saveexec_b32 s16, s27
	s_cbranch_execz .LBB21_10
; %bb.23:                               ;   in Loop: Header=BB21_12 Depth=1
	s_and_b32 s1, s36, exec_lo
	s_cselect_b32 s1, s5, s14
	v_add_nc_u32_e32 v5, s1, v9
	s_add_i32 s1, s0, -1
	s_and_b32 s5, s36, exec_lo
	s_cselect_b32 s1, 0, s1
	s_lshl_b64 s[8:9], s[8:9], 3
	v_ashrrev_i32_e32 v6, 31, v5
	s_add_i32 s14, s15, s1
	s_ashr_i32 s1, s0, 31
	s_ashr_i32 s15, s14, 31
	s_lshl_b64 s[14:15], s[14:15], 3
	v_lshlrev_b64 v[1:2], 3, v[5:6]
	v_add_nc_u32_e32 v5, s4, v5
	s_add_u32 s17, s8, s14
	s_addc_u32 s18, s9, s15
	s_lshl_b64 s[8:9], s[0:1], 3
	v_add_co_u32 v3, vcc_lo, s20, v1
	v_add_co_ci_u32_e64 v4, null, s21, v2, vcc_lo
	v_ashrrev_i32_e32 v6, 31, v5
	s_add_u32 s1, s17, s8
	s_addc_u32 s5, s18, s9
	global_load_dwordx2 v[1:2], v[3:4], off
	s_add_u32 s1, s31, s1
	v_lshlrev_b64 v[5:6], 3, v[5:6]
	s_addc_u32 s14, s33, s5
	s_ashr_i32 s5, s4, 31
	s_mov_b64 s[8:9], 0
	s_lshl_b64 s[4:5], s[4:5], 3
	s_add_u32 s15, s34, s17
	v_add_co_u32 v11, vcc_lo, s20, v5
	v_add_co_ci_u32_e64 v12, null, s21, v6, vcc_lo
	s_addc_u32 s17, s35, s18
	s_inst_prefetch 0x1
	.p2align	6
.LBB21_24:                              ;   Parent Loop BB21_12 Depth=1
                                        ; =>  This Inner Loop Header: Depth=2
	v_add_co_u32 v13, vcc_lo, v11, s8
	v_add_co_ci_u32_e64 v14, null, s9, v12, vcc_lo
	s_add_u32 s18, s15, s8
	s_addc_u32 s19, s17, s9
	s_add_u32 s36, s1, s8
	s_addc_u32 s37, s14, s9
	global_load_dwordx2 v[15:16], v10, s[18:19]
	global_load_dwordx2 v[13:14], v[13:14], off
	global_load_dwordx2 v[17:18], v10, s[36:37]
	s_add_i32 s0, s0, -1
	s_waitcnt vmcnt(0)
	v_mul_f64 v[19:20], v[13:14], v[17:18]
	v_mul_f64 v[17:18], v[1:2], v[17:18]
	v_fma_f64 v[19:20], v[1:2], v[15:16], -v[19:20]
	v_fma_f64 v[1:2], v[13:14], v[15:16], v[17:18]
	v_add_co_u32 v13, vcc_lo, v3, s8
	v_add_co_ci_u32_e64 v14, null, s9, v4, vcc_lo
	s_add_u32 s8, s8, s4
	s_addc_u32 s9, s9, s5
	s_cmp_eq_u32 s0, 0
	global_store_dwordx2 v[13:14], v[19:20], off
	s_cbranch_scc0 .LBB21_24
	s_branch .LBB21_9
.LBB21_25:
	s_endpgm
	.section	.rodata,"a",@progbits
	.p2align	6, 0x0
	.amdhsa_kernel _ZN9rocsolver6v33100L12bdsqr_rotateIddPdS2_S2_EEviiiiT1_iilT2_iilT3_iiliPiPT0_ilS6_
		.amdhsa_group_segment_fixed_size 0
		.amdhsa_private_segment_fixed_size 0
		.amdhsa_kernarg_size 392
		.amdhsa_user_sgpr_count 6
		.amdhsa_user_sgpr_private_segment_buffer 1
		.amdhsa_user_sgpr_dispatch_ptr 0
		.amdhsa_user_sgpr_queue_ptr 0
		.amdhsa_user_sgpr_kernarg_segment_ptr 1
		.amdhsa_user_sgpr_dispatch_id 0
		.amdhsa_user_sgpr_flat_scratch_init 0
		.amdhsa_user_sgpr_private_segment_size 0
		.amdhsa_wavefront_size32 1
		.amdhsa_uses_dynamic_stack 0
		.amdhsa_system_sgpr_private_segment_wavefront_offset 0
		.amdhsa_system_sgpr_workgroup_id_x 1
		.amdhsa_system_sgpr_workgroup_id_y 1
		.amdhsa_system_sgpr_workgroup_id_z 1
		.amdhsa_system_sgpr_workgroup_info 0
		.amdhsa_system_vgpr_workitem_id 0
		.amdhsa_next_free_vgpr 21
		.amdhsa_next_free_sgpr 46
		.amdhsa_reserve_vcc 1
		.amdhsa_reserve_flat_scratch 0
		.amdhsa_float_round_mode_32 0
		.amdhsa_float_round_mode_16_64 0
		.amdhsa_float_denorm_mode_32 3
		.amdhsa_float_denorm_mode_16_64 3
		.amdhsa_dx10_clamp 1
		.amdhsa_ieee_mode 1
		.amdhsa_fp16_overflow 0
		.amdhsa_workgroup_processor_mode 1
		.amdhsa_memory_ordered 1
		.amdhsa_forward_progress 1
		.amdhsa_shared_vgpr_count 0
		.amdhsa_exception_fp_ieee_invalid_op 0
		.amdhsa_exception_fp_denorm_src 0
		.amdhsa_exception_fp_ieee_div_zero 0
		.amdhsa_exception_fp_ieee_overflow 0
		.amdhsa_exception_fp_ieee_underflow 0
		.amdhsa_exception_fp_ieee_inexact 0
		.amdhsa_exception_int_div_zero 0
	.end_amdhsa_kernel
	.section	.text._ZN9rocsolver6v33100L12bdsqr_rotateIddPdS2_S2_EEviiiiT1_iilT2_iilT3_iiliPiPT0_ilS6_,"axG",@progbits,_ZN9rocsolver6v33100L12bdsqr_rotateIddPdS2_S2_EEviiiiT1_iilT2_iilT3_iiliPiPT0_ilS6_,comdat
.Lfunc_end21:
	.size	_ZN9rocsolver6v33100L12bdsqr_rotateIddPdS2_S2_EEviiiiT1_iilT2_iilT3_iiliPiPT0_ilS6_, .Lfunc_end21-_ZN9rocsolver6v33100L12bdsqr_rotateIddPdS2_S2_EEviiiiT1_iilT2_iilT3_iiliPiPT0_ilS6_
                                        ; -- End function
	.set _ZN9rocsolver6v33100L12bdsqr_rotateIddPdS2_S2_EEviiiiT1_iilT2_iilT3_iiliPiPT0_ilS6_.num_vgpr, 21
	.set _ZN9rocsolver6v33100L12bdsqr_rotateIddPdS2_S2_EEviiiiT1_iilT2_iilT3_iiliPiPT0_ilS6_.num_agpr, 0
	.set _ZN9rocsolver6v33100L12bdsqr_rotateIddPdS2_S2_EEviiiiT1_iilT2_iilT3_iiliPiPT0_ilS6_.numbered_sgpr, 46
	.set _ZN9rocsolver6v33100L12bdsqr_rotateIddPdS2_S2_EEviiiiT1_iilT2_iilT3_iiliPiPT0_ilS6_.num_named_barrier, 0
	.set _ZN9rocsolver6v33100L12bdsqr_rotateIddPdS2_S2_EEviiiiT1_iilT2_iilT3_iiliPiPT0_ilS6_.private_seg_size, 0
	.set _ZN9rocsolver6v33100L12bdsqr_rotateIddPdS2_S2_EEviiiiT1_iilT2_iilT3_iiliPiPT0_ilS6_.uses_vcc, 1
	.set _ZN9rocsolver6v33100L12bdsqr_rotateIddPdS2_S2_EEviiiiT1_iilT2_iilT3_iiliPiPT0_ilS6_.uses_flat_scratch, 0
	.set _ZN9rocsolver6v33100L12bdsqr_rotateIddPdS2_S2_EEviiiiT1_iilT2_iilT3_iiliPiPT0_ilS6_.has_dyn_sized_stack, 0
	.set _ZN9rocsolver6v33100L12bdsqr_rotateIddPdS2_S2_EEviiiiT1_iilT2_iilT3_iiliPiPT0_ilS6_.has_recursion, 0
	.set _ZN9rocsolver6v33100L12bdsqr_rotateIddPdS2_S2_EEviiiiT1_iilT2_iilT3_iiliPiPT0_ilS6_.has_indirect_call, 0
	.section	.AMDGPU.csdata,"",@progbits
; Kernel info:
; codeLenInByte = 1936
; TotalNumSgprs: 48
; NumVgprs: 21
; ScratchSize: 0
; MemoryBound: 0
; FloatMode: 240
; IeeeMode: 1
; LDSByteSize: 0 bytes/workgroup (compile time only)
; SGPRBlocks: 0
; VGPRBlocks: 2
; NumSGPRsForWavesPerEU: 48
; NumVGPRsForWavesPerEU: 21
; Occupancy: 16
; WaveLimiterHint : 1
; COMPUTE_PGM_RSRC2:SCRATCH_EN: 0
; COMPUTE_PGM_RSRC2:USER_SGPR: 6
; COMPUTE_PGM_RSRC2:TRAP_HANDLER: 0
; COMPUTE_PGM_RSRC2:TGID_X_EN: 1
; COMPUTE_PGM_RSRC2:TGID_Y_EN: 1
; COMPUTE_PGM_RSRC2:TGID_Z_EN: 1
; COMPUTE_PGM_RSRC2:TIDIG_COMP_CNT: 0
	.section	.text._ZN9rocsolver6v33100L22bdsqr_update_endpointsIddEEviPT0_lPiS3_lS4_,"axG",@progbits,_ZN9rocsolver6v33100L22bdsqr_update_endpointsIddEEviPT0_lPiS3_lS4_,comdat
	.globl	_ZN9rocsolver6v33100L22bdsqr_update_endpointsIddEEviPT0_lPiS3_lS4_ ; -- Begin function _ZN9rocsolver6v33100L22bdsqr_update_endpointsIddEEviPT0_lPiS3_lS4_
	.p2align	8
	.type	_ZN9rocsolver6v33100L22bdsqr_update_endpointsIddEEviPT0_lPiS3_lS4_,@function
_ZN9rocsolver6v33100L22bdsqr_update_endpointsIddEEviPT0_lPiS3_lS4_: ; @_ZN9rocsolver6v33100L22bdsqr_update_endpointsIddEEviPT0_lPiS3_lS4_
; %bb.0:
	s_load_dwordx4 s[0:3], s[4:5], 0x28
	s_ashr_i32 s9, s8, 31
	s_lshl_b64 s[10:11], s[8:9], 2
	s_waitcnt lgkmcnt(0)
	s_add_u32 s2, s2, s10
	s_addc_u32 s3, s3, s11
	s_load_dword s2, s[2:3], 0x8
	s_waitcnt lgkmcnt(0)
	s_cmp_lg_u32 s2, 0
	s_cbranch_scc1 .LBB22_31
; %bb.1:
	s_load_dwordx8 s[12:19], s[4:5], 0x8
	s_mul_i32 s2, s0, s9
	s_mul_hi_u32 s3, s0, s8
	s_mul_i32 s1, s1, s8
	s_add_i32 s2, s3, s2
	s_mul_i32 s0, s0, s8
	s_add_i32 s1, s2, s1
	s_lshl_b64 s[0:1], s[0:1], 3
	s_waitcnt lgkmcnt(0)
	s_add_u32 s2, s18, s0
	s_addc_u32 s3, s19, s1
	s_load_dwordx4 s[20:23], s[2:3], 0x8
	s_waitcnt lgkmcnt(0)
	v_cvt_i32_f64_e32 v9, s[22:23]
	v_cmp_ge_i32_e32 vcc_lo, s7, v9
	s_cbranch_vccnz .LBB22_31
; %bb.2:
	s_load_dword s10, s[4:5], 0x0
	s_mul_i32 s1, s14, s9
	s_mul_hi_u32 s6, s14, s8
	v_cvt_f64_i32_e32 v[4:5], v9
	s_add_i32 s1, s6, s1
	s_load_dword s6, s[4:5], 0x3c
	s_mul_i32 s9, s15, s8
	s_mul_i32 s0, s14, s8
	s_add_i32 s1, s1, s9
	v_mov_b32_e32 v6, 0
	s_lshl_b64 s[0:1], s[0:1], 3
	s_add_u32 s18, s12, s0
	s_addc_u32 s19, s13, s1
	s_waitcnt lgkmcnt(0)
	s_mul_i32 s0, s8, s10
	s_lshl_b32 s0, s0, 1
	s_ashr_i32 s1, s0, 31
	s_lshl_b64 s[0:1], s[0:1], 2
	s_add_u32 s16, s16, s0
	s_addc_u32 s17, s17, s1
	s_add_u32 s22, s18, -8
	s_addc_u32 s23, s19, -1
	s_branch .LBB22_5
.LBB22_3:                               ;   in Loop: Header=BB22_5 Depth=1
	s_mov_b32 s8, s10
.LBB22_4:                               ;   in Loop: Header=BB22_5 Depth=1
	s_add_i32 s7, s6, s7
	v_mov_b32_e32 v0, s8
	v_cmp_lt_i32_e32 vcc_lo, s7, v9
	v_mov_b32_e32 v1, s11
	global_store_dwordx2 v6, v[0:1], s[4:5] offset:4
	s_cbranch_vccz .LBB22_31
.LBB22_5:                               ; =>This Loop Header: Depth=1
                                        ;     Child Loop BB22_10 Depth 2
                                        ;     Child Loop BB22_15 Depth 2
                                        ;     Child Loop BB22_23 Depth 2
                                        ;       Child Loop BB22_29 Depth 3
	s_lshl_b32 s0, s7, 2
	s_ashr_i32 s1, s0, 31
	s_lshl_b64 s[0:1], s[0:1], 2
	s_add_u32 s4, s16, s0
	s_addc_u32 s5, s17, s1
	global_load_dwordx4 v[0:3], v6, s[4:5]
	s_waitcnt vmcnt(0)
	v_cmp_eq_u32_e64 s0, 0, v0
	v_readfirstlane_b32 s12, v1
	v_readfirstlane_b32 s10, v2
	s_and_b32 vcc_lo, exec_lo, s0
	s_cbranch_vccnz .LBB22_7
; %bb.6:                                ;   in Loop: Header=BB22_5 Depth=1
	s_sub_i32 s1, s10, s12
	v_add_nc_u32_e32 v3, s1, v3
	global_store_dword v6, v3, s[4:5] offset:12
.LBB22_7:                               ;   in Loop: Header=BB22_5 Depth=1
	s_cmp_le_i32 s10, s12
	s_cbranch_scc1 .LBB22_17
; %bb.8:                                ;   in Loop: Header=BB22_5 Depth=1
	s_ashr_i32 s13, s12, 31
	s_lshl_b64 s[8:9], s[12:13], 3
	s_add_u32 s14, s18, s8
	s_addc_u32 s15, s19, s9
	s_branch .LBB22_10
	.p2align	6
.LBB22_9:                               ;   in Loop: Header=BB22_10 Depth=2
	v_mov_b32_e32 v7, v6
	s_add_i32 s12, s12, 1
	s_mov_b32 s8, s10
	global_store_dwordx2 v6, v[6:7], s[14:15]
	s_add_u32 s14, s14, 8
	s_addc_u32 s15, s15, 0
	s_cmp_ge_i32 s12, s10
	s_cselect_b32 s1, -1, 0
	s_andn2_b32 vcc_lo, exec_lo, s1
	s_cbranch_vccz .LBB22_12
.LBB22_10:                              ;   Parent Loop BB22_5 Depth=1
                                        ; =>  This Inner Loop Header: Depth=2
	global_load_dwordx2 v[0:1], v6, s[14:15]
	s_waitcnt vmcnt(0)
	v_cmp_nlt_f64_e64 s1, |v[0:1]|, s[20:21]
	s_and_b32 vcc_lo, exec_lo, s1
	s_mov_b32 s1, -1
	s_cbranch_vccz .LBB22_9
; %bb.11:                               ;   in Loop: Header=BB22_10 Depth=2
	s_mov_b32 s8, s12
                                        ; implicit-def: $sgpr12
                                        ; implicit-def: $sgpr14_sgpr15
	s_andn2_b32 vcc_lo, exec_lo, s1
	s_cbranch_vccnz .LBB22_10
.LBB22_12:                              ;   in Loop: Header=BB22_5 Depth=1
	s_cmp_le_i32 s10, s8
	s_cbranch_scc1 .LBB22_18
.LBB22_13:                              ;   in Loop: Header=BB22_5 Depth=1
	s_ashr_i32 s11, s10, 31
	s_lshl_b64 s[12:13], s[10:11], 3
	s_add_u32 s12, s22, s12
	s_addc_u32 s13, s23, s13
	s_branch .LBB22_15
	.p2align	6
.LBB22_14:                              ;   in Loop: Header=BB22_15 Depth=2
	v_mov_b32_e32 v7, v6
	s_add_i32 s10, s10, -1
	s_mov_b32 s11, s8
	global_store_dwordx2 v6, v[6:7], s[12:13]
	s_add_u32 s12, s12, -8
	s_addc_u32 s13, s13, -1
	s_cmp_le_i32 s10, s8
	s_cselect_b32 s1, -1, 0
	s_andn2_b32 vcc_lo, exec_lo, s1
	s_cbranch_vccz .LBB22_19
.LBB22_15:                              ;   Parent Loop BB22_5 Depth=1
                                        ; =>  This Inner Loop Header: Depth=2
	global_load_dwordx2 v[0:1], v6, s[12:13]
	s_waitcnt vmcnt(0)
	v_cmp_nlt_f64_e64 s1, |v[0:1]|, s[20:21]
	s_and_b32 vcc_lo, exec_lo, s1
	s_mov_b32 s1, -1
	s_cbranch_vccz .LBB22_14
; %bb.16:                               ;   in Loop: Header=BB22_15 Depth=2
	s_mov_b32 s11, s10
                                        ; implicit-def: $sgpr10
                                        ; implicit-def: $sgpr12_sgpr13
	s_andn2_b32 vcc_lo, exec_lo, s1
	s_cbranch_vccnz .LBB22_15
	s_branch .LBB22_19
.LBB22_17:                              ;   in Loop: Header=BB22_5 Depth=1
	s_mov_b32 s8, s12
	s_cmp_le_i32 s10, s8
	s_cbranch_scc0 .LBB22_13
.LBB22_18:                              ;   in Loop: Header=BB22_5 Depth=1
	s_mov_b32 s11, s10
.LBB22_19:                              ;   in Loop: Header=BB22_5 Depth=1
	s_cmp_lt_i32 s8, s11
	s_mov_b32 s10, s8
	s_cselect_b32 s1, -1, 0
	s_and_b32 s0, s0, s1
	s_andn2_b32 vcc_lo, exec_lo, s0
	s_cbranch_vccz .LBB22_23
	s_branch .LBB22_4
.LBB22_20:                              ;   in Loop: Header=BB22_23 Depth=2
	s_or_b32 exec_lo, exec_lo, s9
.LBB22_21:                              ;   in Loop: Header=BB22_23 Depth=2
	s_or_b32 exec_lo, exec_lo, s1
	v_cvt_f64_u32_e32 v[7:8], v2
	v_readfirstlane_b32 s1, v1
	v_readfirstlane_b32 s0, v0
	v_mov_b32_e32 v2, s8
	v_add_f64 v[0:1], s[0:1], v[7:8]
	v_cndmask_b32_e64 v1, v1, s1, vcc_lo
	v_cndmask_b32_e64 v0, v0, s0, vcc_lo
	v_add_f64 v[0:1], v[0:1], v[4:5]
	v_cvt_i32_f64_e32 v0, v[0:1]
	v_lshlrev_b32_e32 v0, 2, v0
	v_ashrrev_i32_e32 v1, 31, v0
	v_lshlrev_b64 v[7:8], 2, v[0:1]
	v_mov_b32_e32 v1, s10
	v_add_co_u32 v7, vcc_lo, s16, v7
	v_add_co_ci_u32_e64 v8, null, s17, v8, vcc_lo
	global_store_dwordx3 v[7:8], v[1:3], off offset:4
.LBB22_22:                              ;   in Loop: Header=BB22_23 Depth=2
	s_add_i32 s10, s8, 1
	s_mov_b32 s8, s10
	s_cmp_lt_i32 s8, s11
	s_cbranch_scc0 .LBB22_3
.LBB22_23:                              ;   Parent Loop BB22_5 Depth=1
                                        ; =>  This Loop Header: Depth=2
                                        ;       Child Loop BB22_29 Depth 3
	s_ashr_i32 s9, s8, 31
	s_mov_b32 s12, -1
	s_lshl_b64 s[0:1], s[8:9], 3
	s_add_u32 s0, s18, s0
	s_addc_u32 s1, s19, s1
	global_load_dwordx2 v[0:1], v6, s[0:1]
	s_waitcnt vmcnt(0)
	v_cmp_lt_f64_e64 s9, |v[0:1]|, s[20:21]
	s_and_b32 vcc_lo, exec_lo, s9
                                        ; implicit-def: $sgpr9
	s_cbranch_vccnz .LBB22_25
; %bb.24:                               ;   in Loop: Header=BB22_23 Depth=2
	s_add_i32 s9, s8, 1
	s_mov_b32 s12, 0
.LBB22_25:                              ;   in Loop: Header=BB22_23 Depth=2
	s_andn2_b32 vcc_lo, exec_lo, s12
	s_cbranch_vccnz .LBB22_30
; %bb.26:                               ;   in Loop: Header=BB22_23 Depth=2
	v_mov_b32_e32 v7, v6
	s_cmp_ge_i32 s10, s8
	global_store_dwordx2 v6, v[6:7], s[0:1]
	s_cbranch_scc1 .LBB22_22
; %bb.27:                               ;   in Loop: Header=BB22_23 Depth=2
	s_mov_b32 s0, exec_lo
                                        ; implicit-def: $vgpr0_vgpr1
	v_mbcnt_lo_u32_b32 v2, s0, 0
	v_cmp_eq_u32_e32 vcc_lo, 0, v2
	s_and_saveexec_b32 s1, vcc_lo
	s_cbranch_execz .LBB22_21
; %bb.28:                               ;   in Loop: Header=BB22_23 Depth=2
	global_load_dwordx2 v[0:1], v6, s[2:3] offset:24
	s_bcnt1_i32_b32 s0, s0
	s_mov_b32 s9, 0
	v_cvt_f64_u32_e32 v[7:8], s0
.LBB22_29:                              ;   Parent Loop BB22_5 Depth=1
                                        ;     Parent Loop BB22_23 Depth=2
                                        ; =>    This Inner Loop Header: Depth=3
	s_waitcnt vmcnt(0)
	v_mov_b32_e32 v13, v1
	v_mov_b32_e32 v12, v0
	v_add_f64 v[10:11], v[12:13], v[7:8]
	global_atomic_cmpswap_x2 v[0:1], v6, v[10:13], s[2:3] offset:24 glc
	s_waitcnt vmcnt(0)
	v_cmp_eq_u64_e64 s0, v[0:1], v[12:13]
	s_or_b32 s9, s0, s9
	s_andn2_b32 exec_lo, exec_lo, s9
	s_cbranch_execnz .LBB22_29
	s_branch .LBB22_20
.LBB22_30:                              ;   in Loop: Header=BB22_23 Depth=2
	s_mov_b32 s8, s9
	s_cmp_lt_i32 s8, s11
	s_cbranch_scc1 .LBB22_23
	s_branch .LBB22_3
.LBB22_31:
	s_endpgm
	.section	.rodata,"a",@progbits
	.p2align	6, 0x0
	.amdhsa_kernel _ZN9rocsolver6v33100L22bdsqr_update_endpointsIddEEviPT0_lPiS3_lS4_
		.amdhsa_group_segment_fixed_size 0
		.amdhsa_private_segment_fixed_size 0
		.amdhsa_kernarg_size 312
		.amdhsa_user_sgpr_count 6
		.amdhsa_user_sgpr_private_segment_buffer 1
		.amdhsa_user_sgpr_dispatch_ptr 0
		.amdhsa_user_sgpr_queue_ptr 0
		.amdhsa_user_sgpr_kernarg_segment_ptr 1
		.amdhsa_user_sgpr_dispatch_id 0
		.amdhsa_user_sgpr_flat_scratch_init 0
		.amdhsa_user_sgpr_private_segment_size 0
		.amdhsa_wavefront_size32 1
		.amdhsa_uses_dynamic_stack 0
		.amdhsa_system_sgpr_private_segment_wavefront_offset 0
		.amdhsa_system_sgpr_workgroup_id_x 1
		.amdhsa_system_sgpr_workgroup_id_y 1
		.amdhsa_system_sgpr_workgroup_id_z 1
		.amdhsa_system_sgpr_workgroup_info 0
		.amdhsa_system_vgpr_workitem_id 0
		.amdhsa_next_free_vgpr 14
		.amdhsa_next_free_sgpr 24
		.amdhsa_reserve_vcc 1
		.amdhsa_reserve_flat_scratch 0
		.amdhsa_float_round_mode_32 0
		.amdhsa_float_round_mode_16_64 0
		.amdhsa_float_denorm_mode_32 3
		.amdhsa_float_denorm_mode_16_64 3
		.amdhsa_dx10_clamp 1
		.amdhsa_ieee_mode 1
		.amdhsa_fp16_overflow 0
		.amdhsa_workgroup_processor_mode 1
		.amdhsa_memory_ordered 1
		.amdhsa_forward_progress 1
		.amdhsa_shared_vgpr_count 0
		.amdhsa_exception_fp_ieee_invalid_op 0
		.amdhsa_exception_fp_denorm_src 0
		.amdhsa_exception_fp_ieee_div_zero 0
		.amdhsa_exception_fp_ieee_overflow 0
		.amdhsa_exception_fp_ieee_underflow 0
		.amdhsa_exception_fp_ieee_inexact 0
		.amdhsa_exception_int_div_zero 0
	.end_amdhsa_kernel
	.section	.text._ZN9rocsolver6v33100L22bdsqr_update_endpointsIddEEviPT0_lPiS3_lS4_,"axG",@progbits,_ZN9rocsolver6v33100L22bdsqr_update_endpointsIddEEviPT0_lPiS3_lS4_,comdat
.Lfunc_end22:
	.size	_ZN9rocsolver6v33100L22bdsqr_update_endpointsIddEEviPT0_lPiS3_lS4_, .Lfunc_end22-_ZN9rocsolver6v33100L22bdsqr_update_endpointsIddEEviPT0_lPiS3_lS4_
                                        ; -- End function
	.set _ZN9rocsolver6v33100L22bdsqr_update_endpointsIddEEviPT0_lPiS3_lS4_.num_vgpr, 14
	.set _ZN9rocsolver6v33100L22bdsqr_update_endpointsIddEEviPT0_lPiS3_lS4_.num_agpr, 0
	.set _ZN9rocsolver6v33100L22bdsqr_update_endpointsIddEEviPT0_lPiS3_lS4_.numbered_sgpr, 24
	.set _ZN9rocsolver6v33100L22bdsqr_update_endpointsIddEEviPT0_lPiS3_lS4_.num_named_barrier, 0
	.set _ZN9rocsolver6v33100L22bdsqr_update_endpointsIddEEviPT0_lPiS3_lS4_.private_seg_size, 0
	.set _ZN9rocsolver6v33100L22bdsqr_update_endpointsIddEEviPT0_lPiS3_lS4_.uses_vcc, 1
	.set _ZN9rocsolver6v33100L22bdsqr_update_endpointsIddEEviPT0_lPiS3_lS4_.uses_flat_scratch, 0
	.set _ZN9rocsolver6v33100L22bdsqr_update_endpointsIddEEviPT0_lPiS3_lS4_.has_dyn_sized_stack, 0
	.set _ZN9rocsolver6v33100L22bdsqr_update_endpointsIddEEviPT0_lPiS3_lS4_.has_recursion, 0
	.set _ZN9rocsolver6v33100L22bdsqr_update_endpointsIddEEviPT0_lPiS3_lS4_.has_indirect_call, 0
	.section	.AMDGPU.csdata,"",@progbits
; Kernel info:
; codeLenInByte = 972
; TotalNumSgprs: 26
; NumVgprs: 14
; ScratchSize: 0
; MemoryBound: 0
; FloatMode: 240
; IeeeMode: 1
; LDSByteSize: 0 bytes/workgroup (compile time only)
; SGPRBlocks: 0
; VGPRBlocks: 1
; NumSGPRsForWavesPerEU: 26
; NumVGPRsForWavesPerEU: 14
; Occupancy: 16
; WaveLimiterHint : 1
; COMPUTE_PGM_RSRC2:SCRATCH_EN: 0
; COMPUTE_PGM_RSRC2:USER_SGPR: 6
; COMPUTE_PGM_RSRC2:TRAP_HANDLER: 0
; COMPUTE_PGM_RSRC2:TGID_X_EN: 1
; COMPUTE_PGM_RSRC2:TGID_Y_EN: 1
; COMPUTE_PGM_RSRC2:TGID_Z_EN: 1
; COMPUTE_PGM_RSRC2:TIDIG_COMP_CNT: 0
	.section	.text._ZN9rocsolver6v33100L19bdsqr_chk_completedIddEEviiPiPT0_lS2_,"axG",@progbits,_ZN9rocsolver6v33100L19bdsqr_chk_completedIddEEviiPiPT0_lS2_,comdat
	.globl	_ZN9rocsolver6v33100L19bdsqr_chk_completedIddEEviiPiPT0_lS2_ ; -- Begin function _ZN9rocsolver6v33100L19bdsqr_chk_completedIddEEviiPiPT0_lS2_
	.p2align	8
	.type	_ZN9rocsolver6v33100L19bdsqr_chk_completedIddEEviiPiPT0_lS2_,@function
_ZN9rocsolver6v33100L19bdsqr_chk_completedIddEEviiPiPT0_lS2_: ; @_ZN9rocsolver6v33100L19bdsqr_chk_completedIddEEviiPiPT0_lS2_
; %bb.0:
	s_load_dwordx8 s[8:15], s[4:5], 0x8
	s_mov_b32 s2, s7
	s_ashr_i32 s3, s7, 31
	s_lshl_b64 s[0:1], s[2:3], 2
	s_waitcnt lgkmcnt(0)
	s_add_u32 s0, s14, s0
	s_addc_u32 s1, s15, s1
	s_load_dword s6, s[0:1], 0x8
	s_waitcnt lgkmcnt(0)
	s_cmp_lg_u32 s6, 0
	s_cbranch_scc0 .LBB23_2
.LBB23_1:
	s_endpgm
.LBB23_2:
	s_mul_i32 s3, s12, s3
	s_mul_hi_u32 s6, s12, s2
	s_mul_i32 s7, s13, s2
	s_add_i32 s3, s6, s3
	s_mul_i32 s6, s12, s2
	s_add_i32 s7, s3, s7
	s_load_dword s3, s[14:15], 0x4
	s_lshl_b64 s[6:7], s[6:7], 3
	v_mov_b32_e32 v2, 0
	s_add_u32 s6, s10, s6
	s_addc_u32 s7, s11, s7
	s_load_dwordx4 s[16:19], s[6:7], 0x10
	v_mov_b32_e32 v3, v2
	s_waitcnt lgkmcnt(0)
	v_add_f64 v[0:1], s[16:17], s[18:19]
	v_cvt_i32_f64_e32 v4, v[0:1]
	v_cvt_f64_i32_e32 v[0:1], v4
	v_cmp_ge_i32_e32 vcc_lo, s3, v4
	global_store_dwordx4 v2, v[0:3], s[6:7] offset:16
	s_cbranch_vccnz .LBB23_6
; %bb.3:
	v_mov_b32_e32 v5, s3
	s_mov_b32 s3, 0
.LBB23_4:                               ; =>This Inner Loop Header: Depth=1
	global_atomic_cmpswap v5, v2, v[4:5], s[14:15] offset:4 glc
	s_waitcnt vmcnt(0)
	v_cmp_ge_i32_e32 vcc_lo, v5, v4
	s_or_b32 s3, vcc_lo, s3
	s_andn2_b32 exec_lo, exec_lo, s3
	s_cbranch_execnz .LBB23_4
; %bb.5:
	s_or_b32 exec_lo, exec_lo, s3
.LBB23_6:
	v_cmp_gt_i32_e32 vcc_lo, 1, v4
	s_cbranch_vccnz .LBB23_14
; %bb.7:
	s_load_dwordx2 s[4:5], s[4:5], 0x0
	v_mov_b32_e32 v0, 0
	s_waitcnt lgkmcnt(0)
	s_mul_i32 s2, s2, s4
	s_lshl_b32 s2, s2, 1
	s_ashr_i32 s3, s2, 31
	s_lshl_b64 s[2:3], s[2:3], 2
	s_add_u32 s2, s8, s2
	s_addc_u32 s3, s9, s3
	s_add_u32 s2, s2, 12
	s_addc_u32 s3, s3, 0
	s_branch .LBB23_9
	.p2align	6
.LBB23_8:                               ;   in Loop: Header=BB23_9 Depth=1
	v_add_nc_u32_e32 v4, -1, v4
	s_add_u32 s2, s2, 16
	s_addc_u32 s3, s3, 0
	s_mov_b32 s4, 0
	v_cmp_eq_u32_e64 s6, 0, v4
	s_andn2_b32 vcc_lo, exec_lo, s6
	s_cbranch_vccz .LBB23_13
.LBB23_9:                               ; =>This Inner Loop Header: Depth=1
	global_load_dwordx2 v[1:2], v0, s[2:3] offset:-8
	s_mov_b32 s4, -1
	s_waitcnt vmcnt(0)
	v_cmp_ge_i32_e32 vcc_lo, v1, v2
	s_cbranch_vccnz .LBB23_11
; %bb.10:                               ;   in Loop: Header=BB23_9 Depth=1
	global_load_dword v1, v0, s[2:3]
	s_waitcnt vmcnt(0)
	v_cmp_le_i32_e64 s4, s5, v1
.LBB23_11:                              ;   in Loop: Header=BB23_9 Depth=1
	s_andn2_b32 vcc_lo, exec_lo, s4
	s_cbranch_vccz .LBB23_8
; %bb.12:
	s_mov_b32 s4, -1
                                        ; implicit-def: $vgpr4
                                        ; implicit-def: $sgpr2_sgpr3
.LBB23_13:
	s_xor_b32 s2, s4, -1
	s_and_b32 vcc_lo, exec_lo, s2
	s_cbranch_vccz .LBB23_1
	s_branch .LBB23_15
.LBB23_14:
	s_cbranch_execz .LBB23_1
.LBB23_15:
	s_mov_b32 s2, exec_lo
	v_mov_b32_e32 v0, 0
	v_mbcnt_lo_u32_b32 v1, s2, 0
	v_mov_b32_e32 v2, 1
	global_store_dword v0, v2, s[0:1] offset:8
	s_mov_b32 s0, exec_lo
	v_cmpx_eq_u32_e32 0, v1
	s_cbranch_execz .LBB23_1
; %bb.16:
	s_bcnt1_i32_b32 s0, s2
	v_mov_b32_e32 v1, s0
	global_atomic_add v0, v1, s[14:15]
	s_endpgm
	.section	.rodata,"a",@progbits
	.p2align	6, 0x0
	.amdhsa_kernel _ZN9rocsolver6v33100L19bdsqr_chk_completedIddEEviiPiPT0_lS2_
		.amdhsa_group_segment_fixed_size 0
		.amdhsa_private_segment_fixed_size 0
		.amdhsa_kernarg_size 40
		.amdhsa_user_sgpr_count 6
		.amdhsa_user_sgpr_private_segment_buffer 1
		.amdhsa_user_sgpr_dispatch_ptr 0
		.amdhsa_user_sgpr_queue_ptr 0
		.amdhsa_user_sgpr_kernarg_segment_ptr 1
		.amdhsa_user_sgpr_dispatch_id 0
		.amdhsa_user_sgpr_flat_scratch_init 0
		.amdhsa_user_sgpr_private_segment_size 0
		.amdhsa_wavefront_size32 1
		.amdhsa_uses_dynamic_stack 0
		.amdhsa_system_sgpr_private_segment_wavefront_offset 0
		.amdhsa_system_sgpr_workgroup_id_x 1
		.amdhsa_system_sgpr_workgroup_id_y 1
		.amdhsa_system_sgpr_workgroup_id_z 0
		.amdhsa_system_sgpr_workgroup_info 0
		.amdhsa_system_vgpr_workitem_id 0
		.amdhsa_next_free_vgpr 6
		.amdhsa_next_free_sgpr 20
		.amdhsa_reserve_vcc 1
		.amdhsa_reserve_flat_scratch 0
		.amdhsa_float_round_mode_32 0
		.amdhsa_float_round_mode_16_64 0
		.amdhsa_float_denorm_mode_32 3
		.amdhsa_float_denorm_mode_16_64 3
		.amdhsa_dx10_clamp 1
		.amdhsa_ieee_mode 1
		.amdhsa_fp16_overflow 0
		.amdhsa_workgroup_processor_mode 1
		.amdhsa_memory_ordered 1
		.amdhsa_forward_progress 1
		.amdhsa_shared_vgpr_count 0
		.amdhsa_exception_fp_ieee_invalid_op 0
		.amdhsa_exception_fp_denorm_src 0
		.amdhsa_exception_fp_ieee_div_zero 0
		.amdhsa_exception_fp_ieee_overflow 0
		.amdhsa_exception_fp_ieee_underflow 0
		.amdhsa_exception_fp_ieee_inexact 0
		.amdhsa_exception_int_div_zero 0
	.end_amdhsa_kernel
	.section	.text._ZN9rocsolver6v33100L19bdsqr_chk_completedIddEEviiPiPT0_lS2_,"axG",@progbits,_ZN9rocsolver6v33100L19bdsqr_chk_completedIddEEviiPiPT0_lS2_,comdat
.Lfunc_end23:
	.size	_ZN9rocsolver6v33100L19bdsqr_chk_completedIddEEviiPiPT0_lS2_, .Lfunc_end23-_ZN9rocsolver6v33100L19bdsqr_chk_completedIddEEviiPiPT0_lS2_
                                        ; -- End function
	.set _ZN9rocsolver6v33100L19bdsqr_chk_completedIddEEviiPiPT0_lS2_.num_vgpr, 6
	.set _ZN9rocsolver6v33100L19bdsqr_chk_completedIddEEviiPiPT0_lS2_.num_agpr, 0
	.set _ZN9rocsolver6v33100L19bdsqr_chk_completedIddEEviiPiPT0_lS2_.numbered_sgpr, 20
	.set _ZN9rocsolver6v33100L19bdsqr_chk_completedIddEEviiPiPT0_lS2_.num_named_barrier, 0
	.set _ZN9rocsolver6v33100L19bdsqr_chk_completedIddEEviiPiPT0_lS2_.private_seg_size, 0
	.set _ZN9rocsolver6v33100L19bdsqr_chk_completedIddEEviiPiPT0_lS2_.uses_vcc, 1
	.set _ZN9rocsolver6v33100L19bdsqr_chk_completedIddEEviiPiPT0_lS2_.uses_flat_scratch, 0
	.set _ZN9rocsolver6v33100L19bdsqr_chk_completedIddEEviiPiPT0_lS2_.has_dyn_sized_stack, 0
	.set _ZN9rocsolver6v33100L19bdsqr_chk_completedIddEEviiPiPT0_lS2_.has_recursion, 0
	.set _ZN9rocsolver6v33100L19bdsqr_chk_completedIddEEviiPiPT0_lS2_.has_indirect_call, 0
	.section	.AMDGPU.csdata,"",@progbits
; Kernel info:
; codeLenInByte = 424
; TotalNumSgprs: 22
; NumVgprs: 6
; ScratchSize: 0
; MemoryBound: 0
; FloatMode: 240
; IeeeMode: 1
; LDSByteSize: 0 bytes/workgroup (compile time only)
; SGPRBlocks: 0
; VGPRBlocks: 0
; NumSGPRsForWavesPerEU: 22
; NumVGPRsForWavesPerEU: 6
; Occupancy: 16
; WaveLimiterHint : 0
; COMPUTE_PGM_RSRC2:SCRATCH_EN: 0
; COMPUTE_PGM_RSRC2:USER_SGPR: 6
; COMPUTE_PGM_RSRC2:TRAP_HANDLER: 0
; COMPUTE_PGM_RSRC2:TGID_X_EN: 1
; COMPUTE_PGM_RSRC2:TGID_Y_EN: 1
; COMPUTE_PGM_RSRC2:TGID_Z_EN: 0
; COMPUTE_PGM_RSRC2:TIDIG_COMP_CNT: 0
	.section	.text._ZN9rocsolver6v33100L14bdsqr_finalizeIddPdS2_S2_EEviiiiPT0_lS4_lT1_iilT2_iilT3_iilPiS8_S8_,"axG",@progbits,_ZN9rocsolver6v33100L14bdsqr_finalizeIddPdS2_S2_EEviiiiPT0_lS4_lT1_iilT2_iilT3_iilPiS8_S8_,comdat
	.globl	_ZN9rocsolver6v33100L14bdsqr_finalizeIddPdS2_S2_EEviiiiPT0_lS4_lT1_iilT2_iilT3_iilPiS8_S8_ ; -- Begin function _ZN9rocsolver6v33100L14bdsqr_finalizeIddPdS2_S2_EEviiiiPT0_lS4_lT1_iilT2_iilT3_iilPiS8_S8_
	.p2align	8
	.type	_ZN9rocsolver6v33100L14bdsqr_finalizeIddPdS2_S2_EEviiiiPT0_lS4_lT1_iilT2_iilT3_iilPiS8_S8_,@function
_ZN9rocsolver6v33100L14bdsqr_finalizeIddPdS2_S2_EEviiiiPT0_lS4_lT1_iilT2_iilT3_iilPiS8_S8_: ; @_ZN9rocsolver6v33100L14bdsqr_finalizeIddPdS2_S2_EEviiiiPT0_lS4_lT1_iilT2_iilT3_iilPiS8_S8_
; %bb.0:
	s_add_u32 s6, s6, s10
	s_mov_b32 s32, 0
	s_addc_u32 s7, s7, 0
	s_setreg_b32 hwreg(HW_REG_FLAT_SCR_LO), s6
	s_setreg_b32 hwreg(HW_REG_FLAT_SCR_HI), s7
	s_load_dwordx8 s[36:43], s[4:5], 0x70
	s_add_u32 s0, s0, s10
	s_addc_u32 s1, s1, 0
	s_mov_b32 s12, s9
	s_ashr_i32 s13, s9, 31
	s_lshl_b64 s[26:27], s[12:13], 2
	s_waitcnt lgkmcnt(0)
	s_add_u32 s6, s42, s26
	s_addc_u32 s7, s43, s27
	s_load_dword s6, s[6:7], 0x8
	s_waitcnt lgkmcnt(0)
	s_cmp_gt_i32 s6, 1
	s_cbranch_scc1 .LBB24_310
; %bb.1:
	s_clause 0x2
	s_load_dwordx2 s[6:7], s[4:5], 0x9c
	s_load_dwordx8 s[44:51], s[4:5], 0x30
	s_load_dwordx8 s[52:59], s[4:5], 0x10
	s_mov_b64 s[28:29], 0
	s_mov_b64 s[34:35], 0
	s_waitcnt lgkmcnt(0)
	s_and_b32 s7, s7, 0xffff
	s_cmp_eq_u64 s[44:45], 0
	s_cbranch_scc1 .LBB24_3
; %bb.2:
	s_mul_i32 s8, s48, s13
	s_mul_hi_u32 s9, s48, s12
	s_mul_i32 s10, s49, s12
	s_add_i32 s8, s9, s8
	s_ashr_i32 s11, s46, 31
	s_add_i32 s9, s8, s10
	s_mul_i32 s8, s48, s12
	s_mov_b32 s10, s46
	s_lshl_b64 s[8:9], s[8:9], 3
	s_add_u32 s14, s44, s8
	s_addc_u32 s15, s45, s9
	s_lshl_b64 s[8:9], s[10:11], 3
	s_add_u32 s34, s14, s8
	s_addc_u32 s35, s15, s9
.LBB24_3:
	s_clause 0x1
	s_load_dwordx2 s[42:43], s[4:5], 0x50
	s_load_dwordx4 s[8:11], s[4:5], 0x58
	s_cmp_eq_u64 s[50:51], 0
	s_cbranch_scc1 .LBB24_5
; %bb.4:
	s_waitcnt lgkmcnt(0)
	s_mul_i32 s14, s8, s13
	s_mul_hi_u32 s15, s8, s12
	s_mul_i32 s9, s9, s12
	s_add_i32 s14, s15, s14
	s_mul_i32 s8, s8, s12
	s_add_i32 s9, s14, s9
	s_ashr_i32 s15, s42, 31
	s_lshl_b64 s[8:9], s[8:9], 3
	s_mov_b32 s14, s42
	s_add_u32 s16, s50, s8
	s_addc_u32 s17, s51, s9
	s_lshl_b64 s[8:9], s[14:15], 3
	s_add_u32 s28, s16, s8
	s_addc_u32 s29, s17, s9
.LBB24_5:
	s_load_dwordx2 s[60:61], s[4:5], 0x68
	s_waitcnt lgkmcnt(0)
	s_cmp_eq_u64 s[10:11], 0
	s_mov_b64 s[44:45], 0
	s_cbranch_scc1 .LBB24_7
; %bb.6:
	s_mul_i32 s8, s36, s13
	s_mul_hi_u32 s9, s36, s12
	s_mul_i32 s14, s37, s12
	s_add_i32 s8, s9, s8
	s_ashr_i32 s15, s60, 31
	s_add_i32 s9, s8, s14
	s_mul_i32 s8, s36, s12
	s_mov_b32 s14, s60
	s_lshl_b64 s[8:9], s[8:9], 3
	s_add_u32 s10, s10, s8
	s_addc_u32 s11, s11, s9
	s_lshl_b64 s[8:9], s[14:15], 3
	s_add_u32 s44, s10, s8
	s_addc_u32 s45, s11, s9
.LBB24_7:
	s_mul_i32 s8, s54, s13
	s_mul_hi_u32 s9, s54, s12
	s_mul_i32 s10, s55, s12
	s_add_i32 s9, s9, s8
	s_mul_i32 s8, s54, s12
	s_add_i32 s9, s9, s10
	s_load_dwordx4 s[48:51], s[4:5], 0x0
	s_lshl_b64 s[54:55], s[8:9], 3
	s_add_u32 s36, s52, s54
	s_addc_u32 s37, s53, s55
	s_lshr_b32 s8, s6, 16
	s_and_b32 s25, s6, 0xffff
	s_and_b32 s7, s7, 0xffff
	s_mul_i32 s46, s8, s25
	v_mul_u32_u24_e32 v4, s25, v1
	v_mul_lo_u32 v3, s46, v2
	s_mul_i32 s46, s46, s7
	v_add3_u32 v40, v4, v0, v3
	s_waitcnt lgkmcnt(0)
	s_cmp_lt_i32 s48, 1
	v_cmp_eq_u32_e64 s6, 0, v40
	s_cbranch_scc1 .LBB24_22
; %bb.8:
	s_mul_i32 s7, s58, s13
	s_mul_hi_u32 s8, s58, s12
	s_mul_i32 s9, s59, s12
	s_add_i32 s7, s8, s7
	s_mul_i32 s8, s58, s12
	s_add_i32 s9, s7, s9
	v_cmp_gt_u32_e64 s7, s49, v40
	s_lshl_b64 s[8:9], s[8:9], 3
	v_mov_b32_e32 v3, 0
	s_add_u32 s13, s56, s8
	s_addc_u32 s16, s57, s9
	s_add_i32 s17, s48, -1
	s_cmp_lg_u32 s49, 0
	s_mov_b32 s9, 0
	s_cselect_b32 s18, -1, 0
	s_ashr_i32 s19, s47, 31
	s_mov_b32 s20, s47
	s_mov_b32 s8, s9
	s_mov_b32 s42, s9
	s_branch .LBB24_11
.LBB24_9:                               ;   in Loop: Header=BB24_11 Depth=1
	s_or_b32 exec_lo, exec_lo, s14
.LBB24_10:                              ;   in Loop: Header=BB24_11 Depth=1
	s_add_i32 s8, s8, 1
	s_cmp_eq_u32 s8, s48
	s_cbranch_scc1 .LBB24_23
.LBB24_11:                              ; =>This Loop Header: Depth=1
                                        ;     Child Loop BB24_18 Depth 2
	s_cmp_ge_i32 s8, s17
	s_cbranch_scc1 .LBB24_14
; %bb.12:                               ;   in Loop: Header=BB24_11 Depth=1
	s_lshl_b64 s[10:11], s[8:9], 3
	s_add_u32 s10, s13, s10
	s_addc_u32 s11, s16, s11
	global_load_dwordx2 v[4:5], v3, s[10:11]
	s_waitcnt vmcnt(0)
	v_cmp_eq_f64_e32 vcc_lo, 0, v[4:5]
	s_cbranch_vccnz .LBB24_14
; %bb.13:                               ;   in Loop: Header=BB24_11 Depth=1
	s_add_i32 s42, s42, 1
.LBB24_14:                              ;   in Loop: Header=BB24_11 Depth=1
	s_lshl_b64 s[14:15], s[8:9], 3
	s_add_u32 s10, s36, s14
	s_addc_u32 s11, s37, s15
	global_load_dwordx2 v[4:5], v3, s[10:11]
	s_waitcnt vmcnt(0)
	v_cmp_ngt_f64_e32 vcc_lo, 0, v[4:5]
	s_cbranch_vccnz .LBB24_10
; %bb.15:                               ;   in Loop: Header=BB24_11 Depth=1
	s_andn2_b32 vcc_lo, exec_lo, s18
	s_cbranch_vccnz .LBB24_20
; %bb.16:                               ;   in Loop: Header=BB24_11 Depth=1
	s_and_saveexec_b32 s21, s7
	s_cbranch_execz .LBB24_19
; %bb.17:                               ;   in Loop: Header=BB24_11 Depth=1
	v_mov_b32_e32 v4, v40
	s_add_u32 s14, s34, s14
	s_addc_u32 s15, s35, s15
	s_mov_b32 s22, 0
	.p2align	6
.LBB24_18:                              ;   Parent Loop BB24_11 Depth=1
                                        ; =>  This Inner Loop Header: Depth=2
	v_mad_u64_u32 v[5:6], null, v4, s20, 0
	v_mad_u64_u32 v[6:7], null, v4, s19, v[6:7]
	v_add_nc_u32_e32 v4, s46, v4
	v_lshlrev_b64 v[5:6], 3, v[5:6]
	v_add_co_u32 v5, vcc_lo, s14, v5
	v_add_co_ci_u32_e64 v6, null, s15, v6, vcc_lo
	v_cmp_le_u32_e32 vcc_lo, s49, v4
	global_load_dwordx2 v[7:8], v[5:6], off
	s_or_b32 s22, vcc_lo, s22
	s_waitcnt vmcnt(0)
	v_xor_b32_e32 v8, 0x80000000, v8
	global_store_dwordx2 v[5:6], v[7:8], off
	s_andn2_b32 exec_lo, exec_lo, s22
	s_cbranch_execnz .LBB24_18
.LBB24_19:                              ;   in Loop: Header=BB24_11 Depth=1
	s_or_b32 exec_lo, exec_lo, s21
	s_waitcnt_vscnt null, 0x0
	s_barrier
	buffer_gl0_inv
.LBB24_20:                              ;   in Loop: Header=BB24_11 Depth=1
	s_and_saveexec_b32 s14, s6
	s_cbranch_execz .LBB24_9
; %bb.21:                               ;   in Loop: Header=BB24_11 Depth=1
	global_load_dwordx2 v[4:5], v3, s[10:11]
	s_waitcnt vmcnt(0)
	v_xor_b32_e32 v5, 0x80000000, v5
	global_store_dwordx2 v3, v[4:5], s[10:11]
	s_branch .LBB24_9
.LBB24_22:
	s_mov_b32 s42, 0
.LBB24_23:
	s_cmp_lt_i32 s42, 1
	s_mov_b32 s6, -1
	s_cbranch_scc0 .LBB24_307
; %bb.24:
	s_mul_i32 s6, s12, s48
	s_mov_b32 s56, 0
	s_lshl_b32 s6, s6, 1
	s_waitcnt_vscnt null, 0x0
	s_ashr_i32 s7, s6, 31
	s_barrier
	s_lshl_b64 s[6:7], s[6:7], 2
	buffer_gl0_inv
	s_add_u32 s6, s40, s6
	s_addc_u32 s7, s41, s7
	s_cmp_lg_u64 s[40:41], 0
	s_cselect_b32 s41, s7, 0
	s_cselect_b32 s40, s6, 0
	s_cmp_lg_u64 s[40:41], 0
	s_cbranch_scc0 .LBB24_43
; %bb.25:
	s_or_b32 s6, s50, s49
	s_or_b32 s6, s6, s51
	s_cmp_gt_i32 s48, 0
	s_cselect_b32 s60, -1, 0
	s_cmp_lg_u64 s[52:53], 0
	s_cselect_b32 s7, -1, 0
	s_and_b32 s58, s60, s7
	s_cmp_eq_u32 s6, 0
	s_cbranch_scc1 .LBB24_44
; %bb.26:
	s_mov_b32 s62, -1
	s_mov_b32 s59, 0
	s_and_b32 vcc_lo, exec_lo, s58
	s_cbranch_vccz .LBB24_142
; %bb.27:
	s_mov_b32 s6, exec_lo
	s_barrier
	buffer_gl0_inv
	v_cmpx_gt_u32_e64 s48, v40
	s_cbranch_execz .LBB24_30
; %bb.28:
	v_mov_b32_e32 v4, 0
	v_mov_b32_e32 v3, v40
	s_mov_b32 s7, 0
.LBB24_29:                              ; =>This Inner Loop Header: Depth=1
	v_lshlrev_b64 v[5:6], 2, v[3:4]
	v_add_co_u32 v5, vcc_lo, s40, v5
	v_add_co_ci_u32_e64 v6, null, s41, v6, vcc_lo
	global_store_dword v[5:6], v3, off
	v_add_nc_u32_e32 v3, s46, v3
	v_cmp_le_u32_e32 vcc_lo, s48, v3
	s_or_b32 s7, vcc_lo, s7
	s_andn2_b32 exec_lo, exec_lo, s7
	s_cbranch_execnz .LBB24_29
.LBB24_30:
	s_or_b32 exec_lo, exec_lo, s6
	v_or3_b32 v3, v1, v2, v0
	s_mov_b32 s18, exec_lo
	s_waitcnt_vscnt null, 0x0
	s_barrier
	buffer_gl0_inv
	v_cmpx_eq_u32_e32 0, v3
	s_cbranch_execz .LBB24_126
; %bb.31:
	s_cmpk_lt_u32 s48, 0x2be
	s_cbranch_scc1 .LBB24_45
; %bb.32:
	v_mov_b32_e32 v7, 0
	v_mov_b32_e32 v8, 0x1000
	;; [unrolled: 1-line block ×3, first 2 shown]
	s_movk_i32 s6, 0x2bd
	s_movk_i32 s16, 0x57a
	s_mov_b32 s7, 0
	s_mov_b64 s[8:9], s[36:37]
	s_mov_b64 s[10:11], s[40:41]
	s_branch .LBB24_34
.LBB24_33:                              ;   in Loop: Header=BB24_34 Depth=1
	s_ashr_i32 s13, s12, 31
	s_lshl_b64 s[14:15], s[12:13], 3
	s_add_u32 s14, s36, s14
	s_addc_u32 s15, s37, s15
	s_lshl_b64 s[12:13], s[12:13], 2
	s_add_u32 s12, s40, s12
	s_addc_u32 s13, s41, s13
	s_add_i32 s6, s6, 1
	s_add_i32 s16, s16, 1
	s_add_u32 s10, s10, 4
	s_addc_u32 s11, s11, 0
	s_add_u32 s8, s8, 8
	s_addc_u32 s9, s9, 0
	s_cmp_eq_u32 s6, s48
	global_store_dwordx2 v7, v[3:4], s[14:15]
	global_store_dword v7, v10, s[12:13]
	s_cbranch_scc1 .LBB24_45
.LBB24_34:                              ; =>This Loop Header: Depth=1
                                        ;     Child Loop BB24_35 Depth 2
	s_lshl_b64 s[12:13], s[6:7], 3
	s_mov_b32 s17, s16
	s_add_u32 s12, s36, s12
	s_addc_u32 s13, s37, s13
	s_lshl_b64 s[14:15], s[6:7], 2
	s_add_u32 s14, s40, s14
	s_addc_u32 s15, s41, s15
	s_clause 0x1
	global_load_dwordx2 v[3:4], v7, s[12:13]
	global_load_dword v10, v7, s[14:15]
	s_mov_b64 s[12:13], s[8:9]
	s_mov_b64 s[14:15], s[10:11]
	.p2align	6
.LBB24_35:                              ;   Parent Loop BB24_34 Depth=1
                                        ; =>  This Inner Loop Header: Depth=2
	global_load_dwordx2 v[5:6], v7, s[12:13]
	s_mov_b32 s20, -1
	s_mov_b32 s21, -1
                                        ; implicit-def: $sgpr19
	s_waitcnt vmcnt(0)
	v_cmp_nlt_f64_e32 vcc_lo, v[5:6], v[3:4]
	s_cbranch_vccnz .LBB24_37
; %bb.36:                               ;   in Loop: Header=BB24_35 Depth=2
	global_load_dword v11, v7, s[14:15]
	s_add_i32 s19, s17, 0xfffffd43
	global_store_dwordx2 v8, v[5:6], s[12:13] offset:1512
	s_mov_b32 s20, 0
	s_waitcnt vmcnt(0)
	global_store_dword v9, v11, s[14:15] offset:756
	s_add_u32 s14, s14, 0xfffff50c
	s_addc_u32 s15, s15, -1
	s_add_u32 s12, s12, 0xffffea18
	s_addc_u32 s13, s13, -1
	s_cmpk_lt_i32 s19, 0x57a
	s_cselect_b32 s21, -1, 0
.LBB24_37:                              ;   in Loop: Header=BB24_35 Depth=2
	s_andn2_b32 vcc_lo, exec_lo, s21
	s_cbranch_vccz .LBB24_39
; %bb.38:                               ;   in Loop: Header=BB24_35 Depth=2
	s_mov_b32 s17, s19
	s_branch .LBB24_35
.LBB24_39:                              ;   in Loop: Header=BB24_34 Depth=1
	s_andn2_b32 vcc_lo, exec_lo, s20
	s_mov_b32 s13, -1
                                        ; implicit-def: $sgpr12
	s_cbranch_vccz .LBB24_41
; %bb.40:                               ;   in Loop: Header=BB24_34 Depth=1
	s_add_i32 s12, s19, 0xfffffd43
	s_mov_b32 s13, 0
.LBB24_41:                              ;   in Loop: Header=BB24_34 Depth=1
	s_andn2_b32 vcc_lo, exec_lo, s13
	s_cbranch_vccnz .LBB24_33
; %bb.42:                               ;   in Loop: Header=BB24_34 Depth=1
	s_add_i32 s12, s17, 0xfffffd43
	s_branch .LBB24_33
.LBB24_43:
	s_branch .LBB24_283
.LBB24_44:
	s_mov_b32 s59, 0
	s_cbranch_execnz .LBB24_167
	s_branch .LBB24_278
.LBB24_45:
	s_cmpk_lt_i32 s48, 0x12e
	s_cbranch_scc1 .LBB24_57
; %bb.46:
	v_mov_b32_e32 v7, 0
	v_mov_b32_e32 v8, 0x800
	s_add_u32 s6, s40, 0x4b4
	s_addc_u32 s7, s41, 0
	s_movk_i32 s8, 0x12d
	s_movk_i32 s16, 0x25a
	s_mov_b32 s9, 0
	s_mov_b64 s[10:11], s[36:37]
	s_branch .LBB24_48
.LBB24_47:                              ;   in Loop: Header=BB24_48 Depth=1
	s_ashr_i32 s13, s12, 31
	s_lshl_b64 s[14:15], s[12:13], 3
	s_add_u32 s14, s36, s14
	s_addc_u32 s15, s37, s15
	s_lshl_b64 s[12:13], s[12:13], 2
	s_add_u32 s12, s40, s12
	s_addc_u32 s13, s41, s13
	s_add_i32 s8, s8, 1
	s_add_i32 s16, s16, 1
	s_add_u32 s10, s10, 8
	s_addc_u32 s11, s11, 0
	s_add_u32 s6, s6, 4
	s_addc_u32 s7, s7, 0
	s_cmp_lg_u32 s8, s48
	global_store_dwordx2 v7, v[3:4], s[14:15]
	global_store_dword v7, v9, s[12:13]
	s_cbranch_scc0 .LBB24_57
.LBB24_48:                              ; =>This Loop Header: Depth=1
                                        ;     Child Loop BB24_49 Depth 2
	s_lshl_b64 s[12:13], s[8:9], 3
	s_mov_b32 s17, s16
	s_add_u32 s12, s36, s12
	s_addc_u32 s13, s37, s13
	s_lshl_b64 s[14:15], s[8:9], 2
	s_add_u32 s14, s40, s14
	s_addc_u32 s15, s41, s15
	s_clause 0x1
	global_load_dwordx2 v[3:4], v7, s[12:13]
	global_load_dword v9, v7, s[14:15]
	s_mov_b64 s[14:15], s[6:7]
	s_mov_b64 s[12:13], s[10:11]
	.p2align	6
.LBB24_49:                              ;   Parent Loop BB24_48 Depth=1
                                        ; =>  This Inner Loop Header: Depth=2
	global_load_dwordx2 v[5:6], v7, s[12:13]
	s_mov_b32 s20, -1
	s_mov_b32 s21, -1
                                        ; implicit-def: $sgpr19
	s_waitcnt vmcnt(0)
	v_cmp_nlt_f64_e32 vcc_lo, v[5:6], v[3:4]
	s_cbranch_vccnz .LBB24_51
; %bb.50:                               ;   in Loop: Header=BB24_49 Depth=2
	global_load_dword v10, v7, s[14:15] offset:-1204
	s_add_u32 s22, s14, 0xfffffb4c
	s_addc_u32 s23, s15, -1
	s_add_i32 s19, s17, 0xfffffed3
	global_store_dwordx2 v8, v[5:6], s[12:13] offset:360
	s_add_u32 s12, s12, 0xfffff698
	s_addc_u32 s13, s13, -1
	s_cmpk_lt_i32 s19, 0x25a
	s_mov_b32 s20, 0
	s_cselect_b32 s21, -1, 0
	s_waitcnt vmcnt(0)
	global_store_dword v7, v10, s[14:15]
	s_mov_b64 s[14:15], s[22:23]
.LBB24_51:                              ;   in Loop: Header=BB24_49 Depth=2
	s_andn2_b32 vcc_lo, exec_lo, s21
	s_cbranch_vccz .LBB24_53
; %bb.52:                               ;   in Loop: Header=BB24_49 Depth=2
	s_mov_b32 s17, s19
	s_branch .LBB24_49
.LBB24_53:                              ;   in Loop: Header=BB24_48 Depth=1
	s_andn2_b32 vcc_lo, exec_lo, s20
	s_mov_b32 s13, -1
                                        ; implicit-def: $sgpr12
	s_cbranch_vccz .LBB24_55
; %bb.54:                               ;   in Loop: Header=BB24_48 Depth=1
	s_add_i32 s12, s19, 0xfffffed3
	s_mov_b32 s13, 0
.LBB24_55:                              ;   in Loop: Header=BB24_48 Depth=1
	s_andn2_b32 vcc_lo, exec_lo, s13
	s_cbranch_vccnz .LBB24_47
; %bb.56:                               ;   in Loop: Header=BB24_48 Depth=1
	s_add_i32 s12, s17, 0xfffffed3
	s_branch .LBB24_47
.LBB24_57:
	s_cmpk_lt_i32 s48, 0x85
	s_cbranch_scc1 .LBB24_69
; %bb.58:
	v_mov_b32_e32 v7, 0
	s_add_u32 s6, s40, 0x210
	s_addc_u32 s7, s41, 0
	s_movk_i32 s8, 0x84
	s_movk_i32 s16, 0x108
	s_mov_b32 s9, 0
	s_mov_b64 s[10:11], s[36:37]
	s_branch .LBB24_60
.LBB24_59:                              ;   in Loop: Header=BB24_60 Depth=1
	s_ashr_i32 s13, s12, 31
	s_lshl_b64 s[14:15], s[12:13], 3
	s_add_u32 s14, s36, s14
	s_addc_u32 s15, s37, s15
	s_lshl_b64 s[12:13], s[12:13], 2
	s_add_u32 s12, s40, s12
	s_addc_u32 s13, s41, s13
	s_add_i32 s8, s8, 1
	s_add_i32 s16, s16, 1
	s_add_u32 s6, s6, 4
	s_addc_u32 s7, s7, 0
	s_add_u32 s10, s10, 8
	s_addc_u32 s11, s11, 0
	s_cmp_lg_u32 s8, s48
	global_store_dwordx2 v7, v[3:4], s[14:15]
	global_store_dword v7, v8, s[12:13]
	s_cbranch_scc0 .LBB24_69
.LBB24_60:                              ; =>This Loop Header: Depth=1
                                        ;     Child Loop BB24_61 Depth 2
	s_lshl_b64 s[12:13], s[8:9], 3
	s_mov_b32 s17, s16
	s_add_u32 s12, s36, s12
	s_addc_u32 s13, s37, s13
	s_lshl_b64 s[14:15], s[8:9], 2
	s_add_u32 s14, s40, s14
	s_addc_u32 s15, s41, s15
	s_clause 0x1
	global_load_dwordx2 v[3:4], v7, s[12:13]
	global_load_dword v8, v7, s[14:15]
	s_mov_b64 s[12:13], s[10:11]
	s_mov_b64 s[14:15], s[6:7]
	.p2align	6
.LBB24_61:                              ;   Parent Loop BB24_60 Depth=1
                                        ; =>  This Inner Loop Header: Depth=2
	global_load_dwordx2 v[5:6], v7, s[12:13]
	s_mov_b32 s20, -1
	s_mov_b32 s21, -1
                                        ; implicit-def: $sgpr19
	s_waitcnt vmcnt(0)
	v_cmp_nlt_f64_e32 vcc_lo, v[5:6], v[3:4]
	s_cbranch_vccnz .LBB24_63
; %bb.62:                               ;   in Loop: Header=BB24_61 Depth=2
	global_load_dword v9, v7, s[14:15] offset:-528
	s_add_u32 s22, s14, 0xfffffdf0
	s_addc_u32 s23, s15, -1
	s_add_i32 s19, s17, 0xffffff7c
	global_store_dwordx2 v7, v[5:6], s[12:13] offset:1056
	s_add_u32 s12, s12, 0xfffffbe0
	s_addc_u32 s13, s13, -1
	s_cmpk_lt_i32 s19, 0x108
	s_mov_b32 s20, 0
	s_cselect_b32 s21, -1, 0
	s_waitcnt vmcnt(0)
	global_store_dword v7, v9, s[14:15]
	s_mov_b64 s[14:15], s[22:23]
.LBB24_63:                              ;   in Loop: Header=BB24_61 Depth=2
	s_andn2_b32 vcc_lo, exec_lo, s21
	s_cbranch_vccz .LBB24_65
; %bb.64:                               ;   in Loop: Header=BB24_61 Depth=2
	s_mov_b32 s17, s19
	s_branch .LBB24_61
.LBB24_65:                              ;   in Loop: Header=BB24_60 Depth=1
	s_andn2_b32 vcc_lo, exec_lo, s20
	s_mov_b32 s13, -1
                                        ; implicit-def: $sgpr12
	s_cbranch_vccz .LBB24_67
; %bb.66:                               ;   in Loop: Header=BB24_60 Depth=1
	s_add_i32 s12, s19, 0xffffff7c
	s_mov_b32 s13, 0
.LBB24_67:                              ;   in Loop: Header=BB24_60 Depth=1
	s_andn2_b32 vcc_lo, exec_lo, s13
	s_cbranch_vccnz .LBB24_59
; %bb.68:                               ;   in Loop: Header=BB24_60 Depth=1
	s_add_i32 s12, s17, 0xffffff7c
	s_branch .LBB24_59
.LBB24_69:
	s_cmp_lt_i32 s48, 58
	s_cbranch_scc1 .LBB24_81
; %bb.70:
	v_mov_b32_e32 v7, 0
	s_add_u32 s6, s40, 0xe4
	s_addc_u32 s7, s41, 0
	s_mov_b32 s8, 57
	s_movk_i32 s16, 0x72
	s_mov_b32 s9, 0
	s_mov_b64 s[10:11], s[36:37]
	s_branch .LBB24_72
.LBB24_71:                              ;   in Loop: Header=BB24_72 Depth=1
	s_ashr_i32 s13, s12, 31
	s_lshl_b64 s[14:15], s[12:13], 3
	s_add_u32 s14, s36, s14
	s_addc_u32 s15, s37, s15
	s_lshl_b64 s[12:13], s[12:13], 2
	s_add_u32 s12, s40, s12
	s_addc_u32 s13, s41, s13
	s_add_i32 s8, s8, 1
	s_add_i32 s16, s16, 1
	s_add_u32 s6, s6, 4
	s_addc_u32 s7, s7, 0
	s_add_u32 s10, s10, 8
	s_addc_u32 s11, s11, 0
	s_cmp_lg_u32 s8, s48
	global_store_dwordx2 v7, v[3:4], s[14:15]
	global_store_dword v7, v8, s[12:13]
	s_cbranch_scc0 .LBB24_81
.LBB24_72:                              ; =>This Loop Header: Depth=1
                                        ;     Child Loop BB24_73 Depth 2
	s_lshl_b64 s[12:13], s[8:9], 3
	s_mov_b32 s17, s16
	s_add_u32 s12, s36, s12
	s_addc_u32 s13, s37, s13
	s_lshl_b64 s[14:15], s[8:9], 2
	s_add_u32 s14, s40, s14
	s_addc_u32 s15, s41, s15
	s_clause 0x1
	global_load_dwordx2 v[3:4], v7, s[12:13]
	global_load_dword v8, v7, s[14:15]
	s_mov_b64 s[12:13], s[10:11]
	s_mov_b64 s[14:15], s[6:7]
	.p2align	6
.LBB24_73:                              ;   Parent Loop BB24_72 Depth=1
                                        ; =>  This Inner Loop Header: Depth=2
	global_load_dwordx2 v[5:6], v7, s[12:13]
	s_mov_b32 s20, -1
	s_mov_b32 s21, -1
                                        ; implicit-def: $sgpr19
	s_waitcnt vmcnt(0)
	v_cmp_nlt_f64_e32 vcc_lo, v[5:6], v[3:4]
	s_cbranch_vccnz .LBB24_75
; %bb.74:                               ;   in Loop: Header=BB24_73 Depth=2
	global_load_dword v9, v7, s[14:15] offset:-228
	s_add_u32 s22, s14, 0xffffff1c
	s_addc_u32 s23, s15, -1
	s_sub_i32 s19, s17, 57
	global_store_dwordx2 v7, v[5:6], s[12:13] offset:456
	s_add_u32 s12, s12, 0xfffffe38
	s_addc_u32 s13, s13, -1
	s_cmpk_lt_i32 s19, 0x72
	s_mov_b32 s20, 0
	s_cselect_b32 s21, -1, 0
	s_waitcnt vmcnt(0)
	global_store_dword v7, v9, s[14:15]
	s_mov_b64 s[14:15], s[22:23]
.LBB24_75:                              ;   in Loop: Header=BB24_73 Depth=2
	s_andn2_b32 vcc_lo, exec_lo, s21
	s_cbranch_vccz .LBB24_77
; %bb.76:                               ;   in Loop: Header=BB24_73 Depth=2
	s_mov_b32 s17, s19
	s_branch .LBB24_73
.LBB24_77:                              ;   in Loop: Header=BB24_72 Depth=1
	s_andn2_b32 vcc_lo, exec_lo, s20
	s_mov_b32 s13, -1
                                        ; implicit-def: $sgpr12
	s_cbranch_vccz .LBB24_79
; %bb.78:                               ;   in Loop: Header=BB24_72 Depth=1
	s_sub_i32 s12, s19, 57
	s_mov_b32 s13, 0
.LBB24_79:                              ;   in Loop: Header=BB24_72 Depth=1
	s_andn2_b32 vcc_lo, exec_lo, s13
	s_cbranch_vccnz .LBB24_71
; %bb.80:                               ;   in Loop: Header=BB24_72 Depth=1
	s_sub_i32 s12, s17, 57
	s_branch .LBB24_71
.LBB24_81:
	s_cmp_lt_i32 s48, 24
	s_cbranch_scc1 .LBB24_93
; %bb.82:
	v_mov_b32_e32 v7, 0
	s_add_u32 s6, s40, 0x5c
	s_addc_u32 s7, s41, 0
	s_mov_b32 s8, 23
	s_mov_b32 s16, 46
	;; [unrolled: 1-line block ×3, first 2 shown]
	s_mov_b64 s[10:11], s[36:37]
	s_branch .LBB24_84
.LBB24_83:                              ;   in Loop: Header=BB24_84 Depth=1
	s_ashr_i32 s13, s12, 31
	s_lshl_b64 s[14:15], s[12:13], 3
	s_add_u32 s14, s36, s14
	s_addc_u32 s15, s37, s15
	s_lshl_b64 s[12:13], s[12:13], 2
	s_add_u32 s12, s40, s12
	s_addc_u32 s13, s41, s13
	s_add_i32 s8, s8, 1
	s_add_i32 s16, s16, 1
	s_add_u32 s6, s6, 4
	s_addc_u32 s7, s7, 0
	s_add_u32 s10, s10, 8
	s_addc_u32 s11, s11, 0
	s_cmp_lg_u32 s8, s48
	global_store_dwordx2 v7, v[3:4], s[14:15]
	global_store_dword v7, v8, s[12:13]
	s_cbranch_scc0 .LBB24_93
.LBB24_84:                              ; =>This Loop Header: Depth=1
                                        ;     Child Loop BB24_85 Depth 2
	s_lshl_b64 s[12:13], s[8:9], 3
	s_mov_b32 s17, s16
	s_add_u32 s12, s36, s12
	s_addc_u32 s13, s37, s13
	s_lshl_b64 s[14:15], s[8:9], 2
	s_add_u32 s14, s40, s14
	s_addc_u32 s15, s41, s15
	s_clause 0x1
	global_load_dwordx2 v[3:4], v7, s[12:13]
	global_load_dword v8, v7, s[14:15]
	s_mov_b64 s[12:13], s[10:11]
	s_mov_b64 s[14:15], s[6:7]
	.p2align	6
.LBB24_85:                              ;   Parent Loop BB24_84 Depth=1
                                        ; =>  This Inner Loop Header: Depth=2
	global_load_dwordx2 v[5:6], v7, s[12:13]
	s_mov_b32 s20, -1
	s_mov_b32 s21, -1
                                        ; implicit-def: $sgpr19
	s_waitcnt vmcnt(0)
	v_cmp_nlt_f64_e32 vcc_lo, v[5:6], v[3:4]
	s_cbranch_vccnz .LBB24_87
; %bb.86:                               ;   in Loop: Header=BB24_85 Depth=2
	global_load_dword v9, v7, s[14:15] offset:-92
	s_add_u32 s22, s14, 0xffffffa4
	s_addc_u32 s23, s15, -1
	s_sub_i32 s19, s17, 23
	global_store_dwordx2 v7, v[5:6], s[12:13] offset:184
	s_add_u32 s12, s12, 0xffffff48
	s_addc_u32 s13, s13, -1
	s_cmp_lt_i32 s19, 46
	s_mov_b32 s20, 0
	s_cselect_b32 s21, -1, 0
	s_waitcnt vmcnt(0)
	global_store_dword v7, v9, s[14:15]
	s_mov_b64 s[14:15], s[22:23]
.LBB24_87:                              ;   in Loop: Header=BB24_85 Depth=2
	s_andn2_b32 vcc_lo, exec_lo, s21
	s_cbranch_vccz .LBB24_89
; %bb.88:                               ;   in Loop: Header=BB24_85 Depth=2
	s_mov_b32 s17, s19
	s_branch .LBB24_85
.LBB24_89:                              ;   in Loop: Header=BB24_84 Depth=1
	s_andn2_b32 vcc_lo, exec_lo, s20
	s_mov_b32 s13, -1
                                        ; implicit-def: $sgpr12
	s_cbranch_vccz .LBB24_91
; %bb.90:                               ;   in Loop: Header=BB24_84 Depth=1
	s_sub_i32 s12, s19, 23
	s_mov_b32 s13, 0
.LBB24_91:                              ;   in Loop: Header=BB24_84 Depth=1
	s_andn2_b32 vcc_lo, exec_lo, s13
	s_cbranch_vccnz .LBB24_83
; %bb.92:                               ;   in Loop: Header=BB24_84 Depth=1
	s_sub_i32 s12, s17, 23
	s_branch .LBB24_83
.LBB24_93:
	s_cmp_lt_i32 s48, 11
	s_cbranch_scc1 .LBB24_105
; %bb.94:
	v_mov_b32_e32 v7, 0
	s_add_u32 s6, s40, 40
	s_addc_u32 s7, s41, 0
	s_mov_b32 s8, 10
	s_mov_b32 s16, 20
	s_mov_b32 s9, 0
	s_mov_b64 s[10:11], s[36:37]
	s_branch .LBB24_96
.LBB24_95:                              ;   in Loop: Header=BB24_96 Depth=1
	s_ashr_i32 s13, s12, 31
	s_lshl_b64 s[14:15], s[12:13], 3
	s_add_u32 s14, s36, s14
	s_addc_u32 s15, s37, s15
	s_lshl_b64 s[12:13], s[12:13], 2
	s_add_u32 s12, s40, s12
	s_addc_u32 s13, s41, s13
	s_add_i32 s8, s8, 1
	s_add_i32 s16, s16, 1
	s_add_u32 s6, s6, 4
	s_addc_u32 s7, s7, 0
	s_add_u32 s10, s10, 8
	s_addc_u32 s11, s11, 0
	s_cmp_lg_u32 s8, s48
	global_store_dwordx2 v7, v[3:4], s[14:15]
	global_store_dword v7, v8, s[12:13]
	s_cbranch_scc0 .LBB24_105
.LBB24_96:                              ; =>This Loop Header: Depth=1
                                        ;     Child Loop BB24_97 Depth 2
	s_lshl_b64 s[12:13], s[8:9], 3
	s_mov_b32 s17, s16
	s_add_u32 s12, s36, s12
	s_addc_u32 s13, s37, s13
	s_lshl_b64 s[14:15], s[8:9], 2
	s_add_u32 s14, s40, s14
	s_addc_u32 s15, s41, s15
	s_clause 0x1
	global_load_dwordx2 v[3:4], v7, s[12:13]
	global_load_dword v8, v7, s[14:15]
	s_mov_b64 s[12:13], s[10:11]
	s_mov_b64 s[14:15], s[6:7]
	.p2align	6
.LBB24_97:                              ;   Parent Loop BB24_96 Depth=1
                                        ; =>  This Inner Loop Header: Depth=2
	global_load_dwordx2 v[5:6], v7, s[12:13]
	s_mov_b32 s20, -1
	s_mov_b32 s21, -1
                                        ; implicit-def: $sgpr19
	s_waitcnt vmcnt(0)
	v_cmp_nlt_f64_e32 vcc_lo, v[5:6], v[3:4]
	s_cbranch_vccnz .LBB24_99
; %bb.98:                               ;   in Loop: Header=BB24_97 Depth=2
	global_load_dword v9, v7, s[14:15] offset:-40
	s_add_u32 s22, s14, 0xffffffd8
	s_addc_u32 s23, s15, -1
	s_add_i32 s19, s17, -10
	global_store_dwordx2 v7, v[5:6], s[12:13] offset:80
	s_add_u32 s12, s12, 0xffffffb0
	s_addc_u32 s13, s13, -1
	s_cmp_lt_i32 s19, 20
	s_mov_b32 s20, 0
	s_cselect_b32 s21, -1, 0
	s_waitcnt vmcnt(0)
	global_store_dword v7, v9, s[14:15]
	s_mov_b64 s[14:15], s[22:23]
.LBB24_99:                              ;   in Loop: Header=BB24_97 Depth=2
	s_andn2_b32 vcc_lo, exec_lo, s21
	s_cbranch_vccz .LBB24_101
; %bb.100:                              ;   in Loop: Header=BB24_97 Depth=2
	s_mov_b32 s17, s19
	s_branch .LBB24_97
.LBB24_101:                             ;   in Loop: Header=BB24_96 Depth=1
	s_andn2_b32 vcc_lo, exec_lo, s20
	s_mov_b32 s13, -1
                                        ; implicit-def: $sgpr12
	s_cbranch_vccz .LBB24_103
; %bb.102:                              ;   in Loop: Header=BB24_96 Depth=1
	s_add_i32 s12, s19, -10
	s_mov_b32 s13, 0
.LBB24_103:                             ;   in Loop: Header=BB24_96 Depth=1
	s_andn2_b32 vcc_lo, exec_lo, s13
	s_cbranch_vccnz .LBB24_95
; %bb.104:                              ;   in Loop: Header=BB24_96 Depth=1
	s_add_i32 s12, s17, -10
	s_branch .LBB24_95
.LBB24_105:
	s_cmp_lt_i32 s48, 5
	s_cbranch_scc1 .LBB24_117
; %bb.106:
	s_add_u32 s6, s40, 16
	s_addc_u32 s7, s41, 0
	s_add_u32 s8, s52, s54
	v_mov_b32_e32 v7, 0
	s_addc_u32 s9, s53, s55
	s_add_u32 s8, s8, 32
	s_addc_u32 s9, s9, 0
	s_mov_b32 s10, 4
	s_mov_b32 s19, 8
	;; [unrolled: 1-line block ×3, first 2 shown]
	s_branch .LBB24_108
.LBB24_107:                             ;   in Loop: Header=BB24_108 Depth=1
	s_ashr_i32 s13, s12, 31
	s_lshl_b64 s[14:15], s[12:13], 3
	s_add_u32 s14, s36, s14
	s_addc_u32 s15, s37, s15
	s_lshl_b64 s[12:13], s[12:13], 2
	s_add_u32 s12, s40, s12
	s_addc_u32 s13, s41, s13
	s_add_i32 s10, s10, 1
	s_add_i32 s19, s19, 1
	s_add_u32 s6, s6, 4
	s_addc_u32 s7, s7, 0
	s_add_u32 s8, s8, 8
	s_addc_u32 s9, s9, 0
	s_cmp_lg_u32 s10, s48
	global_store_dwordx2 v7, v[3:4], s[14:15]
	global_store_dword v7, v8, s[12:13]
	s_cbranch_scc0 .LBB24_117
.LBB24_108:                             ; =>This Loop Header: Depth=1
                                        ;     Child Loop BB24_109 Depth 2
	s_lshl_b64 s[12:13], s[10:11], 3
	s_mov_b64 s[16:17], s[8:9]
	s_add_u32 s12, s36, s12
	s_addc_u32 s13, s37, s13
	s_lshl_b64 s[14:15], s[10:11], 2
	s_mov_b32 s20, s19
	s_add_u32 s14, s40, s14
	s_addc_u32 s15, s41, s15
	s_clause 0x1
	global_load_dwordx2 v[3:4], v7, s[12:13]
	global_load_dword v8, v7, s[14:15]
	s_mov_b64 s[12:13], s[6:7]
	.p2align	6
.LBB24_109:                             ;   Parent Loop BB24_108 Depth=1
                                        ; =>  This Inner Loop Header: Depth=2
	global_load_dwordx2 v[5:6], v7, s[16:17] offset:-32
	s_add_u32 s14, s16, 0xffffffe0
	s_addc_u32 s15, s17, -1
	s_mov_b32 s22, -1
	s_mov_b32 s23, -1
                                        ; implicit-def: $sgpr21
	s_waitcnt vmcnt(0)
	v_cmp_nlt_f64_e32 vcc_lo, v[5:6], v[3:4]
	s_cbranch_vccnz .LBB24_111
; %bb.110:                              ;   in Loop: Header=BB24_109 Depth=2
	global_load_dword v9, v7, s[12:13] offset:-16
	s_add_u32 s30, s12, -16
	s_addc_u32 s31, s13, -1
	s_add_i32 s21, s20, -4
	s_mov_b32 s22, 0
	s_cmp_lt_i32 s21, 8
	global_store_dwordx2 v7, v[5:6], s[16:17]
	s_cselect_b32 s23, -1, 0
	s_waitcnt vmcnt(0)
	global_store_dword v7, v9, s[12:13]
	s_mov_b64 s[12:13], s[30:31]
.LBB24_111:                             ;   in Loop: Header=BB24_109 Depth=2
	s_andn2_b32 vcc_lo, exec_lo, s23
	s_cbranch_vccz .LBB24_113
; %bb.112:                              ;   in Loop: Header=BB24_109 Depth=2
	s_mov_b64 s[16:17], s[14:15]
	s_mov_b32 s20, s21
	s_branch .LBB24_109
.LBB24_113:                             ;   in Loop: Header=BB24_108 Depth=1
	s_andn2_b32 vcc_lo, exec_lo, s22
	s_mov_b32 s13, -1
                                        ; implicit-def: $sgpr12
	s_cbranch_vccz .LBB24_115
; %bb.114:                              ;   in Loop: Header=BB24_108 Depth=1
	s_add_i32 s12, s21, -4
	s_mov_b32 s13, 0
.LBB24_115:                             ;   in Loop: Header=BB24_108 Depth=1
	s_andn2_b32 vcc_lo, exec_lo, s13
	s_cbranch_vccnz .LBB24_107
; %bb.116:                              ;   in Loop: Header=BB24_108 Depth=1
	s_add_i32 s12, s20, -4
	s_branch .LBB24_107
.LBB24_117:
	s_cmp_lt_i32 s48, 2
	s_mov_b32 s19, 2
	s_cbranch_scc1 .LBB24_126
; %bb.118:
	s_add_u32 s6, s40, 4
	s_addc_u32 s7, s41, 0
	s_add_u32 s8, s52, s54
	v_mov_b32_e32 v7, 0
	s_addc_u32 s9, s53, s55
	s_add_u32 s8, s8, 8
	s_addc_u32 s9, s9, 0
	s_mov_b32 s10, 1
	s_mov_b32 s11, 0
	s_branch .LBB24_120
.LBB24_119:                             ;   in Loop: Header=BB24_120 Depth=1
	s_ashr_i32 s13, s12, 31
	s_lshl_b64 s[14:15], s[12:13], 3
	s_add_u32 s14, s36, s14
	s_addc_u32 s15, s37, s15
	s_lshl_b64 s[12:13], s[12:13], 2
	s_add_u32 s12, s40, s12
	s_addc_u32 s13, s41, s13
	s_add_i32 s10, s10, 1
	s_add_i32 s19, s19, 1
	s_add_u32 s6, s6, 4
	s_addc_u32 s7, s7, 0
	s_add_u32 s8, s8, 8
	s_addc_u32 s9, s9, 0
	s_cmp_eq_u32 s10, s48
	global_store_dwordx2 v7, v[3:4], s[14:15]
	global_store_dword v7, v8, s[12:13]
	s_cbranch_scc1 .LBB24_126
.LBB24_120:                             ; =>This Loop Header: Depth=1
                                        ;     Child Loop BB24_122 Depth 2
	s_lshl_b64 s[12:13], s[10:11], 3
	s_mov_b32 s21, s19
	s_add_u32 s12, s36, s12
	s_addc_u32 s13, s37, s13
	s_lshl_b64 s[14:15], s[10:11], 2
	s_add_u32 s14, s40, s14
	s_addc_u32 s15, s41, s15
	s_clause 0x1
	global_load_dwordx2 v[3:4], v7, s[12:13]
	global_load_dword v8, v7, s[14:15]
	s_mov_b64 s[14:15], s[8:9]
	s_mov_b64 s[12:13], s[6:7]
	s_inst_prefetch 0x1
	s_branch .LBB24_122
	.p2align	6
.LBB24_121:                             ;   in Loop: Header=BB24_122 Depth=2
	s_andn2_b32 vcc_lo, exec_lo, s23
	s_mov_b64 s[14:15], s[16:17]
	s_cbranch_vccz .LBB24_124
.LBB24_122:                             ;   Parent Loop BB24_120 Depth=1
                                        ; =>  This Inner Loop Header: Depth=2
	global_load_dwordx2 v[5:6], v7, s[14:15] offset:-8
	s_add_u32 s16, s14, -8
	s_mov_b32 s20, s21
	s_addc_u32 s17, s15, -1
	s_mov_b32 s22, -1
	s_mov_b32 s23, -1
                                        ; implicit-def: $sgpr21
	s_waitcnt vmcnt(0)
	v_cmp_nlt_f64_e32 vcc_lo, v[5:6], v[3:4]
	s_cbranch_vccnz .LBB24_121
; %bb.123:                              ;   in Loop: Header=BB24_122 Depth=2
	global_load_dword v9, v7, s[12:13] offset:-4
	s_add_u32 s30, s12, -4
	s_addc_u32 s31, s13, -1
	s_add_i32 s21, s20, -1
	s_mov_b32 s22, 0
	s_cmp_lt_i32 s21, 2
	global_store_dwordx2 v7, v[5:6], s[14:15]
	s_cselect_b32 s23, -1, 0
	s_waitcnt vmcnt(0)
	global_store_dword v7, v9, s[12:13]
	s_mov_b64 s[12:13], s[30:31]
	s_branch .LBB24_121
.LBB24_124:                             ;   in Loop: Header=BB24_120 Depth=1
	s_inst_prefetch 0x2
	s_and_b32 vcc_lo, exec_lo, s22
	s_mov_b32 s12, 0
	s_cbranch_vccz .LBB24_119
; %bb.125:                              ;   in Loop: Header=BB24_120 Depth=1
	s_add_i32 s12, s20, -1
	s_branch .LBB24_119
.LBB24_126:
	s_or_b32 exec_lo, exec_lo, s18
	s_cmp_lt_i32 s48, 2
	s_mov_b32 s62, 0
	s_cselect_b32 s9, -1, 0
	s_waitcnt_vscnt null, 0x0
	s_and_b32 vcc_lo, exec_lo, s9
	s_barrier
	buffer_gl0_inv
	s_cbranch_vccnz .LBB24_134
; %bb.127:
	s_add_i32 s8, s48, -1
	s_mov_b32 s9, -1
	s_mov_b32 s6, 0
	s_mov_b32 s7, exec_lo
	v_cmpx_gt_u32_e64 s8, v40
	s_cbranch_execz .LBB24_136
; %bb.128:
	v_mov_b32_e32 v4, 0
	v_mov_b32_e32 v3, v40
	s_mov_b32 s9, 0
                                        ; implicit-def: $sgpr10
	s_inst_prefetch 0x1
	s_branch .LBB24_130
	.p2align	6
.LBB24_129:                             ;   in Loop: Header=BB24_130 Depth=1
	s_or_b32 exec_lo, exec_lo, s13
	s_xor_b32 s11, s12, -1
	s_and_b32 s6, exec_lo, s6
	s_or_b32 s9, s6, s9
	s_andn2_b32 s6, s10, exec_lo
	s_and_b32 s10, s11, exec_lo
	s_or_b32 s10, s6, s10
	s_andn2_b32 exec_lo, exec_lo, s9
	s_cbranch_execz .LBB24_135
.LBB24_130:                             ; =>This Inner Loop Header: Depth=1
	v_lshlrev_b64 v[5:6], 3, v[3:4]
	s_mov_b32 s12, exec_lo
	v_add_co_u32 v5, vcc_lo, s36, v5
	v_add_co_ci_u32_e64 v6, null, s37, v6, vcc_lo
	global_load_dwordx2 v[7:8], v[5:6], off
	s_waitcnt vmcnt(0)
	v_cmp_u_f64_e64 s11, v[7:8], v[7:8]
	v_cmpx_o_f64_e32 v[7:8], v[7:8]
	s_cbranch_execz .LBB24_132
; %bb.131:                              ;   in Loop: Header=BB24_130 Depth=1
	global_load_dwordx2 v[5:6], v[5:6], off offset:8
	s_andn2_b32 s11, s11, exec_lo
	s_waitcnt vmcnt(0)
	v_cmp_u_f64_e32 vcc_lo, v[5:6], v[5:6]
	v_cmp_ge_f64_e64 s6, v[7:8], v[5:6]
	s_or_b32 s6, vcc_lo, s6
	s_and_b32 s6, s6, exec_lo
	s_or_b32 s11, s11, s6
.LBB24_132:                             ;   in Loop: Header=BB24_130 Depth=1
	s_or_b32 exec_lo, exec_lo, s12
	s_mov_b32 s6, -1
	s_mov_b32 s12, -1
	s_and_saveexec_b32 s13, s11
	s_cbranch_execz .LBB24_129
; %bb.133:                              ;   in Loop: Header=BB24_130 Depth=1
	v_add_nc_u32_e32 v3, s46, v3
	s_xor_b32 s12, exec_lo, -1
	v_cmp_le_u32_e32 vcc_lo, s8, v3
	s_orn2_b32 s6, vcc_lo, exec_lo
	s_branch .LBB24_129
.LBB24_134:
	s_mov_b32 s6, 0
	s_branch .LBB24_137
.LBB24_135:
	s_inst_prefetch 0x2
	s_or_b32 exec_lo, exec_lo, s9
	s_mov_b32 s6, exec_lo
	s_orn2_b32 s9, s10, exec_lo
.LBB24_136:
	s_or_b32 exec_lo, exec_lo, s7
.LBB24_137:
	s_and_saveexec_b32 s7, s9
	s_cbranch_execz .LBB24_139
; %bb.138:
	s_mov_b32 s62, exec_lo
	s_barrier
	s_andn2_b32 s6, s6, exec_lo
	buffer_gl0_inv
.LBB24_139:
	s_or_b32 exec_lo, exec_lo, s7
	s_mov_b32 s56, 0
	s_and_saveexec_b32 s63, s6
	s_cbranch_execz .LBB24_141
; %bb.140:
	s_add_u32 s8, s4, 0x90
	s_addc_u32 s9, s5, 0
	s_getpc_b64 s[6:7]
	s_add_u32 s6, s6, __PRETTY_FUNCTION__._ZN9rocsolver6v33100L21shell_sort_descendingIdiEEvT0_PT_PS2_@rel32@lo+4
	s_addc_u32 s7, s7, __PRETTY_FUNCTION__._ZN9rocsolver6v33100L21shell_sort_descendingIdiEEvT0_PT_PS2_@rel32@hi+12
	v_mov_b32_e32 v41, v0
	v_mov_b32_e32 v0, s6
	;; [unrolled: 1-line block ×4, first 2 shown]
	s_getpc_b64 s[10:11]
	s_add_u32 s10, s10, __assert_fail@rel32@lo+4
	s_addc_u32 s11, s11, __assert_fail@rel32@hi+12
	s_mov_b64 s[56:57], s[4:5]
	v_mov_b32_e32 v43, v2
	s_swappc_b64 s[30:31], s[10:11]
	v_mov_b32_e32 v0, v41
	v_mov_b32_e32 v1, v42
	;; [unrolled: 1-line block ×3, first 2 shown]
	s_mov_b64 s[4:5], s[56:57]
	s_mov_b32 s56, exec_lo
.LBB24_141:
	s_or_b32 exec_lo, exec_lo, s63
.LBB24_142:
	s_and_saveexec_b32 s22, s62
	s_cbranch_execz .LBB24_166
; %bb.143:
	s_andn2_b32 vcc_lo, exec_lo, s60
	s_waitcnt_vscnt null, 0x0
	s_barrier
	buffer_gl0_inv
	s_cbranch_vccnz .LBB24_165
; %bb.144:
	s_cmp_gt_i32 s49, 0
	v_cmp_eq_u32_e64 s6, 0, v40
	s_cselect_b32 s23, -1, 0
	s_ashr_i32 s24, s47, 31
	s_cmp_gt_i32 s50, 0
	v_cmp_gt_u32_e64 s7, s49, v40
	v_cmp_gt_u32_e64 s8, s50, v40
	;; [unrolled: 1-line block ×3, first 2 shown]
	v_mov_b32_e32 v4, 0
	s_mov_b32 s11, 0
	s_cselect_b32 s31, -1, 0
	s_cmp_gt_i32 s51, 0
	s_mov_b32 s30, s47
	s_mov_b32 s33, s43
	s_cselect_b32 s57, -1, 0
	s_ashr_i32 s59, s61, 31
	s_mov_b32 s60, s61
	s_mov_b32 s10, s11
	s_branch .LBB24_146
.LBB24_145:                             ;   in Loop: Header=BB24_146 Depth=1
	s_add_i32 s10, s10, 1
	s_cmp_eq_u32 s10, s48
	s_cbranch_scc1 .LBB24_165
.LBB24_146:                             ; =>This Loop Header: Depth=1
                                        ;     Child Loop BB24_149 Depth 2
                                        ;       Child Loop BB24_154 Depth 3
                                        ;       Child Loop BB24_159 Depth 3
	;; [unrolled: 1-line block ×3, first 2 shown]
	s_lshl_b64 s[12:13], s[10:11], 2
	s_add_u32 s12, s40, s12
	s_addc_u32 s13, s41, s13
	global_load_dword v3, v4, s[12:13]
	s_waitcnt vmcnt(0)
	v_cmp_eq_u32_e32 vcc_lo, s10, v3
	v_readfirstlane_b32 s14, v3
	s_cbranch_vccz .LBB24_149
	s_branch .LBB24_145
.LBB24_147:                             ;   in Loop: Header=BB24_149 Depth=2
	s_or_b32 exec_lo, exec_lo, s18
	s_waitcnt_vscnt null, 0x0
	s_barrier
	buffer_gl0_inv
.LBB24_148:                             ;   in Loop: Header=BB24_149 Depth=2
	global_load_dword v3, v4, s[12:13]
	s_waitcnt vmcnt(0)
	v_cmp_ne_u32_e32 vcc_lo, s10, v3
	v_readfirstlane_b32 s14, v3
	s_cbranch_vccz .LBB24_145
.LBB24_149:                             ;   Parent Loop BB24_146 Depth=1
                                        ; =>  This Loop Header: Depth=2
                                        ;       Child Loop BB24_154 Depth 3
                                        ;       Child Loop BB24_159 Depth 3
	;; [unrolled: 1-line block ×3, first 2 shown]
	s_ashr_i32 s15, s14, 31
	s_lshl_b64 s[16:17], s[14:15], 2
	s_add_u32 s18, s40, s16
	s_addc_u32 s19, s41, s17
	global_load_dword v3, v4, s[18:19]
	s_waitcnt vmcnt(0)
	s_barrier
	buffer_gl0_inv
	v_readfirstlane_b32 s16, v3
	s_and_saveexec_b32 s17, s6
	s_cbranch_execz .LBB24_151
; %bb.150:                              ;   in Loop: Header=BB24_149 Depth=2
	v_mov_b32_e32 v3, s14
	v_mov_b32_e32 v5, s16
	global_store_dword v4, v3, s[18:19]
	global_store_dword v4, v5, s[12:13]
.LBB24_151:                             ;   in Loop: Header=BB24_149 Depth=2
	s_or_b32 exec_lo, exec_lo, s17
	s_andn2_b32 vcc_lo, exec_lo, s23
	s_waitcnt_vscnt null, 0x0
	s_barrier
	buffer_gl0_inv
	s_cbranch_vccnz .LBB24_156
; %bb.152:                              ;   in Loop: Header=BB24_149 Depth=2
	s_and_saveexec_b32 s62, s7
	s_cbranch_execz .LBB24_155
; %bb.153:                              ;   in Loop: Header=BB24_149 Depth=2
	v_mov_b32_e32 v3, v40
	s_ashr_i32 s17, s16, 31
	s_mov_b32 s63, 0
	s_lshl_b64 s[18:19], s[14:15], 3
	s_lshl_b64 s[20:21], s[16:17], 3
	.p2align	6
.LBB24_154:                             ;   Parent Loop BB24_146 Depth=1
                                        ;     Parent Loop BB24_149 Depth=2
                                        ; =>    This Inner Loop Header: Depth=3
	v_mad_u64_u32 v[5:6], null, v3, s30, 0
	v_mad_u64_u32 v[6:7], null, v3, s24, v[6:7]
	v_add_nc_u32_e32 v3, s46, v3
	v_lshlrev_b64 v[5:6], 3, v[5:6]
	v_add_co_u32 v7, vcc_lo, s34, v5
	v_add_co_ci_u32_e64 v8, null, s35, v6, vcc_lo
	v_add_co_u32 v5, vcc_lo, v7, s20
	v_add_co_ci_u32_e64 v6, null, s21, v8, vcc_lo
	;; [unrolled: 2-line block ×3, first 2 shown]
	s_clause 0x1
	global_load_dwordx2 v[9:10], v[5:6], off
	global_load_dwordx2 v[11:12], v[7:8], off
	v_cmp_le_u32_e32 vcc_lo, s49, v3
	s_waitcnt vmcnt(1)
	global_store_dwordx2 v[7:8], v[9:10], off
	s_waitcnt vmcnt(0)
	global_store_dwordx2 v[5:6], v[11:12], off
	s_or_b32 s63, vcc_lo, s63
	s_andn2_b32 exec_lo, exec_lo, s63
	s_cbranch_execnz .LBB24_154
.LBB24_155:                             ;   in Loop: Header=BB24_149 Depth=2
	s_or_b32 exec_lo, exec_lo, s62
	s_waitcnt_vscnt null, 0x0
	s_barrier
	buffer_gl0_inv
.LBB24_156:                             ;   in Loop: Header=BB24_149 Depth=2
	s_andn2_b32 vcc_lo, exec_lo, s31
	s_cbranch_vccnz .LBB24_161
; %bb.157:                              ;   in Loop: Header=BB24_149 Depth=2
	s_and_saveexec_b32 s17, s8
	s_cbranch_execz .LBB24_160
; %bb.158:                              ;   in Loop: Header=BB24_149 Depth=2
	s_mul_hi_i32 s19, s14, s33
	s_mul_i32 s18, s14, s33
	s_mul_hi_i32 s21, s16, s33
	s_lshl_b64 s[18:19], s[18:19], 3
	s_mul_i32 s20, s16, s33
	s_add_u32 s18, s28, s18
	s_addc_u32 s19, s29, s19
	s_lshl_b64 s[20:21], s[20:21], 3
	v_mov_b32_e32 v3, v40
	s_add_u32 s20, s28, s20
	s_addc_u32 s21, s29, s21
	s_mov_b32 s62, 0
	.p2align	6
.LBB24_159:                             ;   Parent Loop BB24_146 Depth=1
                                        ;     Parent Loop BB24_149 Depth=2
                                        ; =>    This Inner Loop Header: Depth=3
	v_lshlrev_b64 v[5:6], 3, v[3:4]
	v_add_nc_u32_e32 v3, s46, v3
	v_add_co_u32 v7, vcc_lo, s20, v5
	v_add_co_ci_u32_e64 v8, null, s21, v6, vcc_lo
	v_add_co_u32 v5, vcc_lo, s18, v5
	v_add_co_ci_u32_e64 v6, null, s19, v6, vcc_lo
	s_clause 0x1
	global_load_dwordx2 v[9:10], v[7:8], off
	global_load_dwordx2 v[11:12], v[5:6], off
	v_cmp_le_u32_e32 vcc_lo, s50, v3
	s_waitcnt vmcnt(1)
	global_store_dwordx2 v[5:6], v[9:10], off
	s_waitcnt vmcnt(0)
	global_store_dwordx2 v[7:8], v[11:12], off
	s_or_b32 s62, vcc_lo, s62
	s_andn2_b32 exec_lo, exec_lo, s62
	s_cbranch_execnz .LBB24_159
.LBB24_160:                             ;   in Loop: Header=BB24_149 Depth=2
	s_or_b32 exec_lo, exec_lo, s17
	s_waitcnt_vscnt null, 0x0
	s_barrier
	buffer_gl0_inv
.LBB24_161:                             ;   in Loop: Header=BB24_149 Depth=2
	s_andn2_b32 vcc_lo, exec_lo, s57
	s_cbranch_vccnz .LBB24_148
; %bb.162:                              ;   in Loop: Header=BB24_149 Depth=2
	s_and_saveexec_b32 s18, s9
	s_cbranch_execz .LBB24_147
; %bb.163:                              ;   in Loop: Header=BB24_149 Depth=2
	v_mov_b32_e32 v3, v40
	s_ashr_i32 s17, s16, 31
	s_mov_b32 s19, 0
	s_lshl_b64 s[14:15], s[14:15], 3
	s_lshl_b64 s[16:17], s[16:17], 3
	.p2align	6
.LBB24_164:                             ;   Parent Loop BB24_146 Depth=1
                                        ;     Parent Loop BB24_149 Depth=2
                                        ; =>    This Inner Loop Header: Depth=3
	v_mad_u64_u32 v[5:6], null, v3, s60, 0
	v_mad_u64_u32 v[6:7], null, v3, s59, v[6:7]
	v_add_nc_u32_e32 v3, s46, v3
	v_lshlrev_b64 v[5:6], 3, v[5:6]
	v_add_co_u32 v7, vcc_lo, s44, v5
	v_add_co_ci_u32_e64 v8, null, s45, v6, vcc_lo
	v_add_co_u32 v5, vcc_lo, v7, s16
	v_add_co_ci_u32_e64 v6, null, s17, v8, vcc_lo
	;; [unrolled: 2-line block ×3, first 2 shown]
	s_clause 0x1
	global_load_dwordx2 v[9:10], v[5:6], off
	global_load_dwordx2 v[11:12], v[7:8], off
	v_cmp_le_u32_e32 vcc_lo, s51, v3
	s_waitcnt vmcnt(1)
	global_store_dwordx2 v[7:8], v[9:10], off
	s_waitcnt vmcnt(0)
	global_store_dwordx2 v[5:6], v[11:12], off
	s_or_b32 s19, vcc_lo, s19
	s_andn2_b32 exec_lo, exec_lo, s19
	s_cbranch_execnz .LBB24_164
	s_branch .LBB24_147
.LBB24_165:
	s_mov_b32 s59, exec_lo
.LBB24_166:
	s_or_b32 exec_lo, exec_lo, s22
	s_branch .LBB24_278
.LBB24_167:
	s_and_b32 vcc_lo, exec_lo, s58
	s_mov_b32 s59, -1
	s_cbranch_vccz .LBB24_278
; %bb.168:
	v_or3_b32 v0, v1, v2, v0
	s_mov_b32 s14, exec_lo
	s_waitcnt_vscnt null, 0x0
	s_barrier
	buffer_gl0_inv
	s_barrier
	buffer_gl0_inv
	v_cmpx_eq_u32_e32 0, v0
	s_cbranch_execz .LBB24_262
; %bb.169:
	s_cmpk_lt_u32 s48, 0x2be
	s_cbranch_scc1 .LBB24_181
; %bb.170:
	v_mov_b32_e32 v4, 0
	v_mov_b32_e32 v5, 0x1000
	s_movk_i32 s6, 0x2bd
	s_movk_i32 s12, 0x57a
	s_mov_b32 s7, 0
	s_mov_b64 s[8:9], s[36:37]
	s_branch .LBB24_172
.LBB24_171:                             ;   in Loop: Header=BB24_172 Depth=1
	s_ashr_i32 s11, s10, 31
	s_lshl_b64 s[10:11], s[10:11], 3
	s_add_u32 s10, s36, s10
	s_addc_u32 s11, s37, s11
	s_add_i32 s6, s6, 1
	s_add_i32 s12, s12, 1
	s_add_u32 s8, s8, 8
	s_addc_u32 s9, s9, 0
	s_cmp_eq_u32 s6, s48
	global_store_dwordx2 v4, v[0:1], s[10:11]
	s_cbranch_scc1 .LBB24_181
.LBB24_172:                             ; =>This Loop Header: Depth=1
                                        ;     Child Loop BB24_173 Depth 2
	s_lshl_b64 s[10:11], s[6:7], 3
	s_mov_b32 s13, s12
	s_add_u32 s10, s36, s10
	s_addc_u32 s11, s37, s11
	global_load_dwordx2 v[0:1], v4, s[10:11]
	s_mov_b64 s[10:11], s[8:9]
	.p2align	6
.LBB24_173:                             ;   Parent Loop BB24_172 Depth=1
                                        ; =>  This Inner Loop Header: Depth=2
	global_load_dwordx2 v[2:3], v4, s[10:11]
	s_mov_b32 s16, -1
	s_mov_b32 s17, -1
                                        ; implicit-def: $sgpr15
	s_waitcnt vmcnt(0)
	v_cmp_nlt_f64_e32 vcc_lo, v[2:3], v[0:1]
	s_cbranch_vccnz .LBB24_175
; %bb.174:                              ;   in Loop: Header=BB24_173 Depth=2
	s_add_i32 s15, s13, 0xfffffd43
	global_store_dwordx2 v5, v[2:3], s[10:11] offset:1512
	s_add_u32 s10, s10, 0xffffea18
	s_addc_u32 s11, s11, -1
	s_cmpk_lt_i32 s15, 0x57a
	s_mov_b32 s16, 0
	s_cselect_b32 s17, -1, 0
.LBB24_175:                             ;   in Loop: Header=BB24_173 Depth=2
	s_andn2_b32 vcc_lo, exec_lo, s17
	s_cbranch_vccz .LBB24_177
; %bb.176:                              ;   in Loop: Header=BB24_173 Depth=2
	s_mov_b32 s13, s15
	s_branch .LBB24_173
.LBB24_177:                             ;   in Loop: Header=BB24_172 Depth=1
	s_andn2_b32 vcc_lo, exec_lo, s16
	s_mov_b32 s11, -1
                                        ; implicit-def: $sgpr10
	s_cbranch_vccz .LBB24_179
; %bb.178:                              ;   in Loop: Header=BB24_172 Depth=1
	s_add_i32 s10, s15, 0xfffffd43
	s_mov_b32 s11, 0
.LBB24_179:                             ;   in Loop: Header=BB24_172 Depth=1
	s_andn2_b32 vcc_lo, exec_lo, s11
	s_cbranch_vccnz .LBB24_171
; %bb.180:                              ;   in Loop: Header=BB24_172 Depth=1
	s_add_i32 s10, s13, 0xfffffd43
	s_branch .LBB24_171
.LBB24_181:
	s_cmpk_lt_i32 s48, 0x12e
	s_cbranch_scc1 .LBB24_193
; %bb.182:
	v_mov_b32_e32 v4, 0
	v_mov_b32_e32 v5, 0x800
	s_movk_i32 s6, 0x12d
	s_movk_i32 s12, 0x25a
	s_mov_b32 s7, 0
	s_mov_b64 s[8:9], s[36:37]
	s_branch .LBB24_184
.LBB24_183:                             ;   in Loop: Header=BB24_184 Depth=1
	s_ashr_i32 s11, s10, 31
	s_lshl_b64 s[10:11], s[10:11], 3
	s_add_u32 s10, s36, s10
	s_addc_u32 s11, s37, s11
	s_add_i32 s6, s6, 1
	s_add_i32 s12, s12, 1
	s_add_u32 s8, s8, 8
	s_addc_u32 s9, s9, 0
	s_cmp_lg_u32 s6, s48
	global_store_dwordx2 v4, v[0:1], s[10:11]
	s_cbranch_scc0 .LBB24_193
.LBB24_184:                             ; =>This Loop Header: Depth=1
                                        ;     Child Loop BB24_185 Depth 2
	s_lshl_b64 s[10:11], s[6:7], 3
	s_mov_b32 s13, s12
	s_add_u32 s10, s36, s10
	s_addc_u32 s11, s37, s11
	global_load_dwordx2 v[0:1], v4, s[10:11]
	s_mov_b64 s[10:11], s[8:9]
	.p2align	6
.LBB24_185:                             ;   Parent Loop BB24_184 Depth=1
                                        ; =>  This Inner Loop Header: Depth=2
	global_load_dwordx2 v[2:3], v4, s[10:11]
	s_mov_b32 s16, -1
	s_mov_b32 s17, -1
                                        ; implicit-def: $sgpr15
	s_waitcnt vmcnt(0)
	v_cmp_nlt_f64_e32 vcc_lo, v[2:3], v[0:1]
	s_cbranch_vccnz .LBB24_187
; %bb.186:                              ;   in Loop: Header=BB24_185 Depth=2
	s_add_i32 s15, s13, 0xfffffed3
	global_store_dwordx2 v5, v[2:3], s[10:11] offset:360
	s_add_u32 s10, s10, 0xfffff698
	s_addc_u32 s11, s11, -1
	s_cmpk_lt_i32 s15, 0x25a
	s_mov_b32 s16, 0
	s_cselect_b32 s17, -1, 0
.LBB24_187:                             ;   in Loop: Header=BB24_185 Depth=2
	s_andn2_b32 vcc_lo, exec_lo, s17
	s_cbranch_vccz .LBB24_189
; %bb.188:                              ;   in Loop: Header=BB24_185 Depth=2
	s_mov_b32 s13, s15
	s_branch .LBB24_185
.LBB24_189:                             ;   in Loop: Header=BB24_184 Depth=1
	s_andn2_b32 vcc_lo, exec_lo, s16
	s_mov_b32 s11, -1
                                        ; implicit-def: $sgpr10
	s_cbranch_vccz .LBB24_191
; %bb.190:                              ;   in Loop: Header=BB24_184 Depth=1
	s_add_i32 s10, s15, 0xfffffed3
	s_mov_b32 s11, 0
.LBB24_191:                             ;   in Loop: Header=BB24_184 Depth=1
	s_andn2_b32 vcc_lo, exec_lo, s11
	s_cbranch_vccnz .LBB24_183
; %bb.192:                              ;   in Loop: Header=BB24_184 Depth=1
	s_add_i32 s10, s13, 0xfffffed3
	s_branch .LBB24_183
.LBB24_193:
	s_cmpk_lt_i32 s48, 0x85
	s_cbranch_scc1 .LBB24_205
; %bb.194:
	s_add_u32 s6, s52, s54
	v_mov_b32_e32 v4, 0
	s_addc_u32 s7, s53, s55
	s_add_u32 s6, s6, 0x420
	s_addc_u32 s7, s7, 0
	s_movk_i32 s8, 0x84
	s_movk_i32 s15, 0x108
	s_mov_b32 s9, 0
	s_branch .LBB24_196
.LBB24_195:                             ;   in Loop: Header=BB24_196 Depth=1
	s_ashr_i32 s11, s10, 31
	s_lshl_b64 s[10:11], s[10:11], 3
	s_add_u32 s10, s36, s10
	s_addc_u32 s11, s37, s11
	s_add_i32 s8, s8, 1
	s_add_i32 s15, s15, 1
	s_add_u32 s6, s6, 8
	s_addc_u32 s7, s7, 0
	s_cmp_lg_u32 s8, s48
	global_store_dwordx2 v4, v[0:1], s[10:11]
	s_cbranch_scc0 .LBB24_205
.LBB24_196:                             ; =>This Loop Header: Depth=1
                                        ;     Child Loop BB24_197 Depth 2
	s_lshl_b64 s[10:11], s[8:9], 3
	s_mov_b64 s[12:13], s[6:7]
	s_add_u32 s10, s36, s10
	s_addc_u32 s11, s37, s11
	s_mov_b32 s16, s15
	global_load_dwordx2 v[0:1], v4, s[10:11]
	.p2align	6
.LBB24_197:                             ;   Parent Loop BB24_196 Depth=1
                                        ; =>  This Inner Loop Header: Depth=2
	global_load_dwordx2 v[2:3], v4, s[12:13] offset:-1056
	s_add_u32 s10, s12, 0xfffffbe0
	s_addc_u32 s11, s13, -1
	s_mov_b32 s18, -1
	s_mov_b32 s19, -1
                                        ; implicit-def: $sgpr17
	s_waitcnt vmcnt(0)
	v_cmp_nlt_f64_e32 vcc_lo, v[2:3], v[0:1]
	s_cbranch_vccnz .LBB24_199
; %bb.198:                              ;   in Loop: Header=BB24_197 Depth=2
	s_add_i32 s17, s16, 0xffffff7c
	s_mov_b32 s18, 0
	s_cmpk_lt_i32 s17, 0x108
	global_store_dwordx2 v4, v[2:3], s[12:13]
	s_cselect_b32 s19, -1, 0
.LBB24_199:                             ;   in Loop: Header=BB24_197 Depth=2
	s_andn2_b32 vcc_lo, exec_lo, s19
	s_cbranch_vccz .LBB24_201
; %bb.200:                              ;   in Loop: Header=BB24_197 Depth=2
	s_mov_b64 s[12:13], s[10:11]
	s_mov_b32 s16, s17
	s_branch .LBB24_197
.LBB24_201:                             ;   in Loop: Header=BB24_196 Depth=1
	s_andn2_b32 vcc_lo, exec_lo, s18
	s_mov_b32 s11, -1
                                        ; implicit-def: $sgpr10
	s_cbranch_vccz .LBB24_203
; %bb.202:                              ;   in Loop: Header=BB24_196 Depth=1
	s_add_i32 s10, s17, 0xffffff7c
	s_mov_b32 s11, 0
.LBB24_203:                             ;   in Loop: Header=BB24_196 Depth=1
	s_andn2_b32 vcc_lo, exec_lo, s11
	s_cbranch_vccnz .LBB24_195
; %bb.204:                              ;   in Loop: Header=BB24_196 Depth=1
	s_add_i32 s10, s16, 0xffffff7c
	s_branch .LBB24_195
.LBB24_205:
	s_cmp_lt_i32 s48, 58
	s_cbranch_scc1 .LBB24_217
; %bb.206:
	s_add_u32 s6, s52, s54
	v_mov_b32_e32 v4, 0
	s_addc_u32 s7, s53, s55
	s_add_u32 s6, s6, 0x1c8
	s_addc_u32 s7, s7, 0
	s_mov_b32 s8, 57
	s_movk_i32 s15, 0x72
	s_mov_b32 s9, 0
	s_branch .LBB24_208
.LBB24_207:                             ;   in Loop: Header=BB24_208 Depth=1
	s_ashr_i32 s11, s10, 31
	s_lshl_b64 s[10:11], s[10:11], 3
	s_add_u32 s10, s36, s10
	s_addc_u32 s11, s37, s11
	s_add_i32 s8, s8, 1
	s_add_i32 s15, s15, 1
	s_add_u32 s6, s6, 8
	s_addc_u32 s7, s7, 0
	s_cmp_lg_u32 s8, s48
	global_store_dwordx2 v4, v[0:1], s[10:11]
	s_cbranch_scc0 .LBB24_217
.LBB24_208:                             ; =>This Loop Header: Depth=1
                                        ;     Child Loop BB24_209 Depth 2
	s_lshl_b64 s[10:11], s[8:9], 3
	s_mov_b64 s[12:13], s[6:7]
	s_add_u32 s10, s36, s10
	s_addc_u32 s11, s37, s11
	s_mov_b32 s16, s15
	global_load_dwordx2 v[0:1], v4, s[10:11]
	.p2align	6
.LBB24_209:                             ;   Parent Loop BB24_208 Depth=1
                                        ; =>  This Inner Loop Header: Depth=2
	global_load_dwordx2 v[2:3], v4, s[12:13] offset:-456
	s_add_u32 s10, s12, 0xfffffe38
	s_addc_u32 s11, s13, -1
	s_mov_b32 s18, -1
	s_mov_b32 s19, -1
                                        ; implicit-def: $sgpr17
	s_waitcnt vmcnt(0)
	v_cmp_nlt_f64_e32 vcc_lo, v[2:3], v[0:1]
	s_cbranch_vccnz .LBB24_211
; %bb.210:                              ;   in Loop: Header=BB24_209 Depth=2
	s_sub_i32 s17, s16, 57
	s_mov_b32 s18, 0
	s_cmpk_lt_i32 s17, 0x72
	global_store_dwordx2 v4, v[2:3], s[12:13]
	s_cselect_b32 s19, -1, 0
.LBB24_211:                             ;   in Loop: Header=BB24_209 Depth=2
	s_andn2_b32 vcc_lo, exec_lo, s19
	s_cbranch_vccz .LBB24_213
; %bb.212:                              ;   in Loop: Header=BB24_209 Depth=2
	s_mov_b64 s[12:13], s[10:11]
	s_mov_b32 s16, s17
	s_branch .LBB24_209
.LBB24_213:                             ;   in Loop: Header=BB24_208 Depth=1
	s_andn2_b32 vcc_lo, exec_lo, s18
	s_mov_b32 s11, -1
                                        ; implicit-def: $sgpr10
	s_cbranch_vccz .LBB24_215
; %bb.214:                              ;   in Loop: Header=BB24_208 Depth=1
	s_sub_i32 s10, s17, 57
	s_mov_b32 s11, 0
.LBB24_215:                             ;   in Loop: Header=BB24_208 Depth=1
	s_andn2_b32 vcc_lo, exec_lo, s11
	s_cbranch_vccnz .LBB24_207
; %bb.216:                              ;   in Loop: Header=BB24_208 Depth=1
	s_sub_i32 s10, s16, 57
	s_branch .LBB24_207
.LBB24_217:
	s_cmp_lt_i32 s48, 24
	s_cbranch_scc1 .LBB24_229
; %bb.218:
	s_add_u32 s6, s52, s54
	v_mov_b32_e32 v4, 0
	s_addc_u32 s7, s53, s55
	s_add_u32 s6, s6, 0xb8
	s_addc_u32 s7, s7, 0
	s_mov_b32 s8, 23
	s_mov_b32 s15, 46
	;; [unrolled: 1-line block ×3, first 2 shown]
	s_branch .LBB24_220
.LBB24_219:                             ;   in Loop: Header=BB24_220 Depth=1
	s_ashr_i32 s11, s10, 31
	s_lshl_b64 s[10:11], s[10:11], 3
	s_add_u32 s10, s36, s10
	s_addc_u32 s11, s37, s11
	s_add_i32 s8, s8, 1
	s_add_i32 s15, s15, 1
	s_add_u32 s6, s6, 8
	s_addc_u32 s7, s7, 0
	s_cmp_lg_u32 s8, s48
	global_store_dwordx2 v4, v[0:1], s[10:11]
	s_cbranch_scc0 .LBB24_229
.LBB24_220:                             ; =>This Loop Header: Depth=1
                                        ;     Child Loop BB24_221 Depth 2
	s_lshl_b64 s[10:11], s[8:9], 3
	s_mov_b64 s[12:13], s[6:7]
	s_add_u32 s10, s36, s10
	s_addc_u32 s11, s37, s11
	s_mov_b32 s16, s15
	global_load_dwordx2 v[0:1], v4, s[10:11]
	.p2align	6
.LBB24_221:                             ;   Parent Loop BB24_220 Depth=1
                                        ; =>  This Inner Loop Header: Depth=2
	global_load_dwordx2 v[2:3], v4, s[12:13] offset:-184
	s_add_u32 s10, s12, 0xffffff48
	s_addc_u32 s11, s13, -1
	s_mov_b32 s18, -1
	s_mov_b32 s19, -1
                                        ; implicit-def: $sgpr17
	s_waitcnt vmcnt(0)
	v_cmp_nlt_f64_e32 vcc_lo, v[2:3], v[0:1]
	s_cbranch_vccnz .LBB24_223
; %bb.222:                              ;   in Loop: Header=BB24_221 Depth=2
	s_sub_i32 s17, s16, 23
	s_mov_b32 s18, 0
	s_cmp_lt_i32 s17, 46
	global_store_dwordx2 v4, v[2:3], s[12:13]
	s_cselect_b32 s19, -1, 0
.LBB24_223:                             ;   in Loop: Header=BB24_221 Depth=2
	s_andn2_b32 vcc_lo, exec_lo, s19
	s_cbranch_vccz .LBB24_225
; %bb.224:                              ;   in Loop: Header=BB24_221 Depth=2
	s_mov_b64 s[12:13], s[10:11]
	s_mov_b32 s16, s17
	s_branch .LBB24_221
.LBB24_225:                             ;   in Loop: Header=BB24_220 Depth=1
	s_andn2_b32 vcc_lo, exec_lo, s18
	s_mov_b32 s11, -1
                                        ; implicit-def: $sgpr10
	s_cbranch_vccz .LBB24_227
; %bb.226:                              ;   in Loop: Header=BB24_220 Depth=1
	s_sub_i32 s10, s17, 23
	s_mov_b32 s11, 0
.LBB24_227:                             ;   in Loop: Header=BB24_220 Depth=1
	s_andn2_b32 vcc_lo, exec_lo, s11
	s_cbranch_vccnz .LBB24_219
; %bb.228:                              ;   in Loop: Header=BB24_220 Depth=1
	s_sub_i32 s10, s16, 23
	s_branch .LBB24_219
.LBB24_229:
	s_cmp_lt_i32 s48, 11
	s_cbranch_scc1 .LBB24_241
; %bb.230:
	s_add_u32 s6, s52, s54
	v_mov_b32_e32 v4, 0
	s_addc_u32 s7, s53, s55
	s_add_u32 s6, s6, 0x50
	s_addc_u32 s7, s7, 0
	s_mov_b32 s8, 10
	s_mov_b32 s15, 20
	;; [unrolled: 1-line block ×3, first 2 shown]
	s_branch .LBB24_232
.LBB24_231:                             ;   in Loop: Header=BB24_232 Depth=1
	s_ashr_i32 s11, s10, 31
	s_lshl_b64 s[10:11], s[10:11], 3
	s_add_u32 s10, s36, s10
	s_addc_u32 s11, s37, s11
	s_add_i32 s8, s8, 1
	s_add_i32 s15, s15, 1
	s_add_u32 s6, s6, 8
	s_addc_u32 s7, s7, 0
	s_cmp_lg_u32 s8, s48
	global_store_dwordx2 v4, v[0:1], s[10:11]
	s_cbranch_scc0 .LBB24_241
.LBB24_232:                             ; =>This Loop Header: Depth=1
                                        ;     Child Loop BB24_233 Depth 2
	s_lshl_b64 s[10:11], s[8:9], 3
	s_mov_b64 s[12:13], s[6:7]
	s_add_u32 s10, s36, s10
	s_addc_u32 s11, s37, s11
	s_mov_b32 s16, s15
	global_load_dwordx2 v[0:1], v4, s[10:11]
	.p2align	6
.LBB24_233:                             ;   Parent Loop BB24_232 Depth=1
                                        ; =>  This Inner Loop Header: Depth=2
	global_load_dwordx2 v[2:3], v4, s[12:13] offset:-80
	s_add_u32 s10, s12, 0xffffffb0
	s_addc_u32 s11, s13, -1
	s_mov_b32 s18, -1
	s_mov_b32 s19, -1
                                        ; implicit-def: $sgpr17
	s_waitcnt vmcnt(0)
	v_cmp_nlt_f64_e32 vcc_lo, v[2:3], v[0:1]
	s_cbranch_vccnz .LBB24_235
; %bb.234:                              ;   in Loop: Header=BB24_233 Depth=2
	s_add_i32 s17, s16, -10
	s_mov_b32 s18, 0
	s_cmp_lt_i32 s17, 20
	global_store_dwordx2 v4, v[2:3], s[12:13]
	s_cselect_b32 s19, -1, 0
.LBB24_235:                             ;   in Loop: Header=BB24_233 Depth=2
	s_andn2_b32 vcc_lo, exec_lo, s19
	s_cbranch_vccz .LBB24_237
; %bb.236:                              ;   in Loop: Header=BB24_233 Depth=2
	s_mov_b64 s[12:13], s[10:11]
	s_mov_b32 s16, s17
	s_branch .LBB24_233
.LBB24_237:                             ;   in Loop: Header=BB24_232 Depth=1
	s_andn2_b32 vcc_lo, exec_lo, s18
	s_mov_b32 s11, -1
                                        ; implicit-def: $sgpr10
	s_cbranch_vccz .LBB24_239
; %bb.238:                              ;   in Loop: Header=BB24_232 Depth=1
	s_add_i32 s10, s17, -10
	s_mov_b32 s11, 0
.LBB24_239:                             ;   in Loop: Header=BB24_232 Depth=1
	s_andn2_b32 vcc_lo, exec_lo, s11
	s_cbranch_vccnz .LBB24_231
; %bb.240:                              ;   in Loop: Header=BB24_232 Depth=1
	s_add_i32 s10, s16, -10
	s_branch .LBB24_231
.LBB24_241:
	s_cmp_lt_i32 s48, 5
	s_cbranch_scc1 .LBB24_253
; %bb.242:
	s_add_u32 s6, s52, s54
	v_mov_b32_e32 v4, 0
	s_addc_u32 s7, s53, s55
	s_add_u32 s6, s6, 32
	s_addc_u32 s7, s7, 0
	s_mov_b32 s8, 4
	s_mov_b32 s15, 8
	;; [unrolled: 1-line block ×3, first 2 shown]
	s_branch .LBB24_244
.LBB24_243:                             ;   in Loop: Header=BB24_244 Depth=1
	s_ashr_i32 s11, s10, 31
	s_lshl_b64 s[10:11], s[10:11], 3
	s_add_u32 s10, s36, s10
	s_addc_u32 s11, s37, s11
	s_add_i32 s8, s8, 1
	s_add_i32 s15, s15, 1
	s_add_u32 s6, s6, 8
	s_addc_u32 s7, s7, 0
	s_cmp_lg_u32 s8, s48
	global_store_dwordx2 v4, v[0:1], s[10:11]
	s_cbranch_scc0 .LBB24_253
.LBB24_244:                             ; =>This Loop Header: Depth=1
                                        ;     Child Loop BB24_245 Depth 2
	s_lshl_b64 s[10:11], s[8:9], 3
	s_mov_b64 s[12:13], s[6:7]
	s_add_u32 s10, s36, s10
	s_addc_u32 s11, s37, s11
	s_mov_b32 s16, s15
	global_load_dwordx2 v[0:1], v4, s[10:11]
	.p2align	6
.LBB24_245:                             ;   Parent Loop BB24_244 Depth=1
                                        ; =>  This Inner Loop Header: Depth=2
	global_load_dwordx2 v[2:3], v4, s[12:13] offset:-32
	s_add_u32 s10, s12, 0xffffffe0
	s_addc_u32 s11, s13, -1
	s_mov_b32 s18, -1
	s_mov_b32 s19, -1
                                        ; implicit-def: $sgpr17
	s_waitcnt vmcnt(0)
	v_cmp_nlt_f64_e32 vcc_lo, v[2:3], v[0:1]
	s_cbranch_vccnz .LBB24_247
; %bb.246:                              ;   in Loop: Header=BB24_245 Depth=2
	s_add_i32 s17, s16, -4
	s_mov_b32 s18, 0
	s_cmp_lt_i32 s17, 8
	global_store_dwordx2 v4, v[2:3], s[12:13]
	s_cselect_b32 s19, -1, 0
.LBB24_247:                             ;   in Loop: Header=BB24_245 Depth=2
	s_andn2_b32 vcc_lo, exec_lo, s19
	s_cbranch_vccz .LBB24_249
; %bb.248:                              ;   in Loop: Header=BB24_245 Depth=2
	s_mov_b64 s[12:13], s[10:11]
	s_mov_b32 s16, s17
	s_branch .LBB24_245
.LBB24_249:                             ;   in Loop: Header=BB24_244 Depth=1
	s_andn2_b32 vcc_lo, exec_lo, s18
	s_mov_b32 s11, -1
                                        ; implicit-def: $sgpr10
	s_cbranch_vccz .LBB24_251
; %bb.250:                              ;   in Loop: Header=BB24_244 Depth=1
	s_add_i32 s10, s17, -4
	s_mov_b32 s11, 0
.LBB24_251:                             ;   in Loop: Header=BB24_244 Depth=1
	s_andn2_b32 vcc_lo, exec_lo, s11
	s_cbranch_vccnz .LBB24_243
; %bb.252:                              ;   in Loop: Header=BB24_244 Depth=1
	s_add_i32 s10, s16, -4
	s_branch .LBB24_243
.LBB24_253:
	s_cmp_lt_i32 s48, 2
	s_mov_b32 s15, 2
	s_cbranch_scc1 .LBB24_262
; %bb.254:
	s_add_u32 s6, s52, s54
	v_mov_b32_e32 v4, 0
	s_addc_u32 s7, s53, s55
	s_add_u32 s6, s6, 8
	s_addc_u32 s7, s7, 0
	s_mov_b32 s8, 1
	s_mov_b32 s9, 0
	s_inst_prefetch 0x1
	s_branch .LBB24_256
	.p2align	6
.LBB24_255:                             ;   in Loop: Header=BB24_256 Depth=1
	s_ashr_i32 s11, s10, 31
	s_lshl_b64 s[10:11], s[10:11], 3
	s_add_u32 s10, s36, s10
	s_addc_u32 s11, s37, s11
	s_add_i32 s8, s8, 1
	s_add_i32 s15, s15, 1
	s_add_u32 s6, s6, 8
	s_addc_u32 s7, s7, 0
	s_cmp_eq_u32 s8, s48
	global_store_dwordx2 v4, v[0:1], s[10:11]
	s_cbranch_scc1 .LBB24_262
.LBB24_256:                             ; =>This Loop Header: Depth=1
                                        ;     Child Loop BB24_258 Depth 2
	s_lshl_b64 s[10:11], s[8:9], 3
	s_mov_b64 s[12:13], s[6:7]
	s_add_u32 s10, s36, s10
	s_addc_u32 s11, s37, s11
	s_mov_b32 s17, s15
	global_load_dwordx2 v[0:1], v4, s[10:11]
	s_branch .LBB24_258
	.p2align	6
.LBB24_257:                             ;   in Loop: Header=BB24_258 Depth=2
	s_andn2_b32 vcc_lo, exec_lo, s19
	s_mov_b64 s[12:13], s[10:11]
	s_cbranch_vccz .LBB24_260
.LBB24_258:                             ;   Parent Loop BB24_256 Depth=1
                                        ; =>  This Inner Loop Header: Depth=2
	global_load_dwordx2 v[2:3], v4, s[12:13] offset:-8
	s_add_u32 s10, s12, -8
	s_mov_b32 s16, s17
	s_addc_u32 s11, s13, -1
	s_mov_b32 s18, -1
	s_mov_b32 s19, -1
                                        ; implicit-def: $sgpr17
	s_waitcnt vmcnt(0)
	v_cmp_nlt_f64_e32 vcc_lo, v[2:3], v[0:1]
	s_cbranch_vccnz .LBB24_257
; %bb.259:                              ;   in Loop: Header=BB24_258 Depth=2
	s_add_i32 s17, s16, -1
	s_mov_b32 s18, 0
	s_cmp_lt_i32 s17, 2
	global_store_dwordx2 v4, v[2:3], s[12:13]
	s_cselect_b32 s19, -1, 0
	s_branch .LBB24_257
.LBB24_260:                             ;   in Loop: Header=BB24_256 Depth=1
	s_and_b32 vcc_lo, exec_lo, s18
	s_mov_b32 s10, 0
	s_cbranch_vccz .LBB24_255
; %bb.261:                              ;   in Loop: Header=BB24_256 Depth=1
	s_add_i32 s10, s16, -1
	s_branch .LBB24_255
.LBB24_262:
	s_inst_prefetch 0x2
	s_or_b32 exec_lo, exec_lo, s14
	s_cmp_lt_i32 s48, 2
	s_mov_b32 s59, 0
	s_cselect_b32 s9, -1, 0
	s_waitcnt_vscnt null, 0x0
	s_and_b32 vcc_lo, exec_lo, s9
	s_barrier
	buffer_gl0_inv
	s_cbranch_vccnz .LBB24_270
; %bb.263:
	s_add_i32 s8, s48, -1
	s_mov_b32 s9, -1
	s_mov_b32 s6, 0
	s_mov_b32 s7, exec_lo
	v_cmpx_gt_u32_e64 s8, v40
	s_cbranch_execz .LBB24_272
; %bb.264:
	v_mov_b32_e32 v1, 0
	v_mov_b32_e32 v0, v40
	s_mov_b32 s9, 0
                                        ; implicit-def: $sgpr10
	s_inst_prefetch 0x1
	s_branch .LBB24_266
	.p2align	6
.LBB24_265:                             ;   in Loop: Header=BB24_266 Depth=1
	s_or_b32 exec_lo, exec_lo, s13
	s_xor_b32 s11, s12, -1
	s_and_b32 s6, exec_lo, s6
	s_or_b32 s9, s6, s9
	s_andn2_b32 s6, s10, exec_lo
	s_and_b32 s10, s11, exec_lo
	s_or_b32 s10, s6, s10
	s_andn2_b32 exec_lo, exec_lo, s9
	s_cbranch_execz .LBB24_271
.LBB24_266:                             ; =>This Inner Loop Header: Depth=1
	v_lshlrev_b64 v[2:3], 3, v[0:1]
	s_mov_b32 s12, exec_lo
	v_add_co_u32 v2, vcc_lo, s36, v2
	v_add_co_ci_u32_e64 v3, null, s37, v3, vcc_lo
	global_load_dwordx2 v[4:5], v[2:3], off
	s_waitcnt vmcnt(0)
	v_cmp_u_f64_e64 s11, v[4:5], v[4:5]
	v_cmpx_o_f64_e32 v[4:5], v[4:5]
	s_cbranch_execz .LBB24_268
; %bb.267:                              ;   in Loop: Header=BB24_266 Depth=1
	global_load_dwordx2 v[2:3], v[2:3], off offset:8
	s_andn2_b32 s11, s11, exec_lo
	s_waitcnt vmcnt(0)
	v_cmp_u_f64_e32 vcc_lo, v[2:3], v[2:3]
	v_cmp_ge_f64_e64 s6, v[4:5], v[2:3]
	s_or_b32 s6, vcc_lo, s6
	s_and_b32 s6, s6, exec_lo
	s_or_b32 s11, s11, s6
.LBB24_268:                             ;   in Loop: Header=BB24_266 Depth=1
	s_or_b32 exec_lo, exec_lo, s12
	s_mov_b32 s6, -1
	s_mov_b32 s12, -1
	s_and_saveexec_b32 s13, s11
	s_cbranch_execz .LBB24_265
; %bb.269:                              ;   in Loop: Header=BB24_266 Depth=1
	v_add_nc_u32_e32 v0, s46, v0
	s_xor_b32 s12, exec_lo, -1
	v_cmp_le_u32_e32 vcc_lo, s8, v0
	s_orn2_b32 s6, vcc_lo, exec_lo
	s_branch .LBB24_265
.LBB24_270:
	s_mov_b32 s6, 0
	s_branch .LBB24_273
.LBB24_271:
	s_inst_prefetch 0x2
	s_or_b32 exec_lo, exec_lo, s9
	s_mov_b32 s6, exec_lo
	s_orn2_b32 s9, s10, exec_lo
.LBB24_272:
	s_or_b32 exec_lo, exec_lo, s7
.LBB24_273:
	s_and_saveexec_b32 s7, s9
	s_cbranch_execz .LBB24_275
; %bb.274:
	s_mov_b32 s59, exec_lo
	s_barrier
	s_andn2_b32 s6, s6, exec_lo
	buffer_gl0_inv
.LBB24_275:
	s_or_b32 exec_lo, exec_lo, s7
	s_and_saveexec_b32 s40, s6
	s_cbranch_execz .LBB24_277
; %bb.276:
	s_add_u32 s8, s4, 0x90
	s_addc_u32 s9, s5, 0
	s_getpc_b64 s[4:5]
	s_add_u32 s4, s4, __PRETTY_FUNCTION__._ZN9rocsolver6v33100L21shell_sort_descendingIdiEEvT0_PT_PS2_@rel32@lo+4
	s_addc_u32 s5, s5, __PRETTY_FUNCTION__._ZN9rocsolver6v33100L21shell_sort_descendingIdiEEvT0_PT_PS2_@rel32@hi+12
	v_mov_b32_e32 v0, s4
	v_mov_b32_e32 v1, s5
	s_getpc_b64 s[6:7]
	s_add_u32 s6, s6, __assert_fail@rel32@lo+4
	s_addc_u32 s7, s7, __assert_fail@rel32@hi+12
	s_swappc_b64 s[30:31], s[6:7]
	s_or_b32 s56, s56, exec_lo
.LBB24_277:
	s_or_b32 exec_lo, exec_lo, s40
.LBB24_278:
	s_and_saveexec_b32 s4, s56
; %bb.279:
	; divergent unreachable
; %bb.280:
	s_or_b32 exec_lo, exec_lo, s4
	s_and_saveexec_b32 s4, s59
	s_cbranch_execz .LBB24_282
; %bb.281:
	s_waitcnt_vscnt null, 0x0
	s_barrier
	buffer_gl0_inv
.LBB24_282:
	s_or_b32 exec_lo, exec_lo, s4
	s_cbranch_execnz .LBB24_306
.LBB24_283:
	s_cmp_lt_i32 s48, 2
	s_cbranch_scc1 .LBB24_306
; %bb.284:
	s_cmp_lg_u32 s49, 0
	v_mul_lo_u32 v2, s47, v40
	s_cselect_b32 s18, -1, 0
	s_cmp_lg_u32 s50, 0
	v_mul_lo_u32 v3, s61, v40
	s_cselect_b32 s19, -1, 0
	s_cmp_lg_u32 s51, 0
	v_cmp_eq_u32_e64 s4, 0, v40
	s_cselect_b32 s20, -1, 0
	s_add_i32 s21, s48, -2
	v_cmp_gt_i32_e64 s5, s49, v40
	v_cmp_gt_i32_e64 s6, s50, v40
	;; [unrolled: 1-line block ×3, first 2 shown]
	s_add_u32 s8, s52, s54
	v_mov_b32_e32 v4, 0
	s_addc_u32 s11, s53, s55
	s_add_u32 s10, s8, 8
	s_mov_b32 s9, 0
	s_addc_u32 s11, s11, 0
	s_mul_i32 s22, s47, s25
	s_mul_i32 s23, s61, s25
	s_mov_b32 s24, 0
	s_mov_b32 s30, 0
	s_branch .LBB24_287
.LBB24_285:                             ;   in Loop: Header=BB24_287 Depth=1
	s_or_b32 exec_lo, exec_lo, s13
	s_waitcnt_vscnt null, 0x0
	s_barrier
	buffer_gl0_inv
.LBB24_286:                             ;   in Loop: Header=BB24_287 Depth=1
	s_add_u32 s10, s10, 8
	s_addc_u32 s11, s11, 0
	s_add_i32 s24, s24, s43
	s_cmp_eq_u32 s8, s21
	s_cbranch_scc1 .LBB24_306
.LBB24_287:                             ; =>This Loop Header: Depth=1
                                        ;     Child Loop BB24_288 Depth 2
                                        ;     Child Loop BB24_295 Depth 2
	;; [unrolled: 1-line block ×4, first 2 shown]
	s_mov_b32 s8, s30
	s_mov_b64 s[16:17], s[10:11]
	s_lshl_b64 s[12:13], s[8:9], 3
	s_add_u32 s14, s36, s12
	s_addc_u32 s15, s37, s13
	s_add_i32 s30, s30, 1
	global_load_dwordx2 v[0:1], v4, s[14:15]
	s_mov_b32 s13, s30
	s_mov_b32 s12, s8
.LBB24_288:                             ;   Parent Loop BB24_287 Depth=1
                                        ; =>  This Inner Loop Header: Depth=2
	global_load_dwordx2 v[5:6], v4, s[16:17]
	s_waitcnt vmcnt(0)
	v_cmp_gt_f64_e32 vcc_lo, v[5:6], v[0:1]
	s_and_b32 s31, vcc_lo, exec_lo
	v_cndmask_b32_e32 v1, v1, v6, vcc_lo
	v_cndmask_b32_e32 v0, v0, v5, vcc_lo
	s_cselect_b32 s12, s13, s12
	s_add_i32 s13, s13, 1
	s_add_u32 s16, s16, 8
	s_addc_u32 s17, s17, 0
	s_cmp_lg_u32 s48, s13
	s_cbranch_scc1 .LBB24_288
; %bb.289:                              ;   in Loop: Header=BB24_287 Depth=1
	s_cmp_eq_u32 s12, s8
	s_waitcnt_vscnt null, 0x0
	s_barrier
	buffer_gl0_inv
	s_cbranch_scc1 .LBB24_286
; %bb.290:                              ;   in Loop: Header=BB24_287 Depth=1
	s_and_saveexec_b32 s16, s4
	s_cbranch_execz .LBB24_292
; %bb.291:                              ;   in Loop: Header=BB24_287 Depth=1
	global_load_dwordx2 v[5:6], v4, s[14:15]
	s_ashr_i32 s13, s12, 31
	s_lshl_b64 s[40:41], s[12:13], 3
	s_add_u32 s40, s36, s40
	s_addc_u32 s41, s37, s41
	s_waitcnt vmcnt(0)
	global_store_dwordx2 v4, v[5:6], s[40:41]
	global_store_dwordx2 v4, v[0:1], s[14:15]
.LBB24_292:                             ;   in Loop: Header=BB24_287 Depth=1
	s_or_b32 exec_lo, exec_lo, s16
	s_andn2_b32 vcc_lo, exec_lo, s18
	s_cbranch_vccnz .LBB24_297
; %bb.293:                              ;   in Loop: Header=BB24_287 Depth=1
	s_and_saveexec_b32 s13, s5
	s_cbranch_execz .LBB24_296
; %bb.294:                              ;   in Loop: Header=BB24_287 Depth=1
	v_mov_b32_e32 v0, v2
	v_mov_b32_e32 v1, v40
	s_mov_b32 s14, 0
	.p2align	6
.LBB24_295:                             ;   Parent Loop BB24_287 Depth=1
                                        ; =>  This Inner Loop Header: Depth=2
	v_add_nc_u32_e32 v5, s8, v0
	v_add_nc_u32_e32 v7, s12, v0
	;; [unrolled: 1-line block ×4, first 2 shown]
	v_ashrrev_i32_e32 v6, 31, v5
	v_ashrrev_i32_e32 v8, 31, v7
	v_lshlrev_b64 v[5:6], 3, v[5:6]
	v_lshlrev_b64 v[7:8], 3, v[7:8]
	v_add_co_u32 v5, vcc_lo, s34, v5
	v_add_co_ci_u32_e64 v6, null, s35, v6, vcc_lo
	v_add_co_u32 v7, vcc_lo, s34, v7
	v_add_co_ci_u32_e64 v8, null, s35, v8, vcc_lo
	s_clause 0x1
	global_load_dwordx2 v[9:10], v[5:6], off
	global_load_dwordx2 v[11:12], v[7:8], off
	v_cmp_le_i32_e32 vcc_lo, s49, v1
	s_waitcnt vmcnt(1)
	global_store_dwordx2 v[7:8], v[9:10], off
	s_waitcnt vmcnt(0)
	global_store_dwordx2 v[5:6], v[11:12], off
	s_or_b32 s14, vcc_lo, s14
	s_andn2_b32 exec_lo, exec_lo, s14
	s_cbranch_execnz .LBB24_295
.LBB24_296:                             ;   in Loop: Header=BB24_287 Depth=1
	s_or_b32 exec_lo, exec_lo, s13
	s_waitcnt_vscnt null, 0x0
	s_barrier
	buffer_gl0_inv
.LBB24_297:                             ;   in Loop: Header=BB24_287 Depth=1
	s_andn2_b32 vcc_lo, exec_lo, s19
	s_cbranch_vccnz .LBB24_302
; %bb.298:                              ;   in Loop: Header=BB24_287 Depth=1
	s_and_saveexec_b32 s13, s6
	s_cbranch_execz .LBB24_301
; %bb.299:                              ;   in Loop: Header=BB24_287 Depth=1
	v_mov_b32_e32 v0, v40
	s_mul_i32 s14, s12, s43
	s_mov_b32 s15, 0
	.p2align	6
.LBB24_300:                             ;   Parent Loop BB24_287 Depth=1
                                        ; =>  This Inner Loop Header: Depth=2
	v_add_nc_u32_e32 v5, s24, v0
	v_add_nc_u32_e32 v7, s14, v0
	;; [unrolled: 1-line block ×3, first 2 shown]
	v_ashrrev_i32_e32 v6, 31, v5
	v_ashrrev_i32_e32 v8, 31, v7
	v_lshlrev_b64 v[5:6], 3, v[5:6]
	v_lshlrev_b64 v[7:8], 3, v[7:8]
	v_add_co_u32 v5, vcc_lo, s28, v5
	v_add_co_ci_u32_e64 v6, null, s29, v6, vcc_lo
	v_add_co_u32 v7, vcc_lo, s28, v7
	v_add_co_ci_u32_e64 v8, null, s29, v8, vcc_lo
	s_clause 0x1
	global_load_dwordx2 v[9:10], v[5:6], off
	global_load_dwordx2 v[11:12], v[7:8], off
	v_cmp_le_i32_e32 vcc_lo, s50, v0
	s_waitcnt vmcnt(1)
	global_store_dwordx2 v[7:8], v[9:10], off
	s_waitcnt vmcnt(0)
	global_store_dwordx2 v[5:6], v[11:12], off
	s_or_b32 s15, vcc_lo, s15
	s_andn2_b32 exec_lo, exec_lo, s15
	s_cbranch_execnz .LBB24_300
.LBB24_301:                             ;   in Loop: Header=BB24_287 Depth=1
	s_or_b32 exec_lo, exec_lo, s13
	s_waitcnt_vscnt null, 0x0
	s_barrier
	buffer_gl0_inv
.LBB24_302:                             ;   in Loop: Header=BB24_287 Depth=1
	s_andn2_b32 vcc_lo, exec_lo, s20
	s_cbranch_vccnz .LBB24_286
; %bb.303:                              ;   in Loop: Header=BB24_287 Depth=1
	s_and_saveexec_b32 s13, s7
	s_cbranch_execz .LBB24_285
; %bb.304:                              ;   in Loop: Header=BB24_287 Depth=1
	v_mov_b32_e32 v0, v3
	v_mov_b32_e32 v1, v40
	s_mov_b32 s14, 0
	.p2align	6
.LBB24_305:                             ;   Parent Loop BB24_287 Depth=1
                                        ; =>  This Inner Loop Header: Depth=2
	v_add_nc_u32_e32 v5, s8, v0
	v_add_nc_u32_e32 v7, s12, v0
	v_add_nc_u32_e32 v1, s25, v1
	v_add_nc_u32_e32 v0, s23, v0
	v_ashrrev_i32_e32 v6, 31, v5
	v_ashrrev_i32_e32 v8, 31, v7
	v_lshlrev_b64 v[5:6], 3, v[5:6]
	v_lshlrev_b64 v[7:8], 3, v[7:8]
	v_add_co_u32 v5, vcc_lo, s44, v5
	v_add_co_ci_u32_e64 v6, null, s45, v6, vcc_lo
	v_add_co_u32 v7, vcc_lo, s44, v7
	v_add_co_ci_u32_e64 v8, null, s45, v8, vcc_lo
	s_clause 0x1
	global_load_dwordx2 v[9:10], v[5:6], off
	global_load_dwordx2 v[11:12], v[7:8], off
	v_cmp_le_i32_e32 vcc_lo, s51, v1
	s_waitcnt vmcnt(1)
	global_store_dwordx2 v[7:8], v[9:10], off
	s_waitcnt vmcnt(0)
	global_store_dwordx2 v[5:6], v[11:12], off
	s_or_b32 s14, vcc_lo, s14
	s_andn2_b32 exec_lo, exec_lo, s14
	s_cbranch_execnz .LBB24_305
	s_branch .LBB24_285
.LBB24_306:
	s_mov_b32 s6, 0
.LBB24_307:
	s_andn2_b32 vcc_lo, exec_lo, s6
	s_cbranch_vccnz .LBB24_310
; %bb.308:
	s_mov_b32 s4, exec_lo
	v_cmpx_eq_u32_e32 0, v40
	s_cbranch_execz .LBB24_310
; %bb.309:
	v_mov_b32_e32 v0, 0
	v_mov_b32_e32 v1, s42
	s_add_u32 s4, s38, s26
	s_addc_u32 s5, s39, s27
	global_store_dword v0, v1, s[4:5]
.LBB24_310:
	s_endpgm
	.section	.rodata,"a",@progbits
	.p2align	6, 0x0
	.amdhsa_kernel _ZN9rocsolver6v33100L14bdsqr_finalizeIddPdS2_S2_EEviiiiPT0_lS4_lT1_iilT2_iilT3_iilPiS8_S8_
		.amdhsa_group_segment_fixed_size 0
		.amdhsa_private_segment_fixed_size 64
		.amdhsa_kernarg_size 400
		.amdhsa_user_sgpr_count 8
		.amdhsa_user_sgpr_private_segment_buffer 1
		.amdhsa_user_sgpr_dispatch_ptr 0
		.amdhsa_user_sgpr_queue_ptr 0
		.amdhsa_user_sgpr_kernarg_segment_ptr 1
		.amdhsa_user_sgpr_dispatch_id 0
		.amdhsa_user_sgpr_flat_scratch_init 1
		.amdhsa_user_sgpr_private_segment_size 0
		.amdhsa_wavefront_size32 1
		.amdhsa_uses_dynamic_stack 0
		.amdhsa_system_sgpr_private_segment_wavefront_offset 1
		.amdhsa_system_sgpr_workgroup_id_x 1
		.amdhsa_system_sgpr_workgroup_id_y 1
		.amdhsa_system_sgpr_workgroup_id_z 0
		.amdhsa_system_sgpr_workgroup_info 0
		.amdhsa_system_vgpr_workitem_id 2
		.amdhsa_next_free_vgpr 44
		.amdhsa_next_free_sgpr 64
		.amdhsa_reserve_vcc 1
		.amdhsa_reserve_flat_scratch 1
		.amdhsa_float_round_mode_32 0
		.amdhsa_float_round_mode_16_64 0
		.amdhsa_float_denorm_mode_32 3
		.amdhsa_float_denorm_mode_16_64 3
		.amdhsa_dx10_clamp 1
		.amdhsa_ieee_mode 1
		.amdhsa_fp16_overflow 0
		.amdhsa_workgroup_processor_mode 1
		.amdhsa_memory_ordered 1
		.amdhsa_forward_progress 1
		.amdhsa_shared_vgpr_count 0
		.amdhsa_exception_fp_ieee_invalid_op 0
		.amdhsa_exception_fp_denorm_src 0
		.amdhsa_exception_fp_ieee_div_zero 0
		.amdhsa_exception_fp_ieee_overflow 0
		.amdhsa_exception_fp_ieee_underflow 0
		.amdhsa_exception_fp_ieee_inexact 0
		.amdhsa_exception_int_div_zero 0
	.end_amdhsa_kernel
	.section	.text._ZN9rocsolver6v33100L14bdsqr_finalizeIddPdS2_S2_EEviiiiPT0_lS4_lT1_iilT2_iilT3_iilPiS8_S8_,"axG",@progbits,_ZN9rocsolver6v33100L14bdsqr_finalizeIddPdS2_S2_EEviiiiPT0_lS4_lT1_iilT2_iilT3_iilPiS8_S8_,comdat
.Lfunc_end24:
	.size	_ZN9rocsolver6v33100L14bdsqr_finalizeIddPdS2_S2_EEviiiiPT0_lS4_lT1_iilT2_iilT3_iilPiS8_S8_, .Lfunc_end24-_ZN9rocsolver6v33100L14bdsqr_finalizeIddPdS2_S2_EEviiiiPT0_lS4_lT1_iilT2_iilT3_iilPiS8_S8_
                                        ; -- End function
	.set _ZN9rocsolver6v33100L14bdsqr_finalizeIddPdS2_S2_EEviiiiPT0_lS4_lT1_iilT2_iilT3_iilPiS8_S8_.num_vgpr, max(44, .L__assert_fail.num_vgpr)
	.set _ZN9rocsolver6v33100L14bdsqr_finalizeIddPdS2_S2_EEviiiiPT0_lS4_lT1_iilT2_iilT3_iilPiS8_S8_.num_agpr, max(0, .L__assert_fail.num_agpr)
	.set _ZN9rocsolver6v33100L14bdsqr_finalizeIddPdS2_S2_EEviiiiPT0_lS4_lT1_iilT2_iilT3_iilPiS8_S8_.numbered_sgpr, max(64, .L__assert_fail.numbered_sgpr)
	.set _ZN9rocsolver6v33100L14bdsqr_finalizeIddPdS2_S2_EEviiiiPT0_lS4_lT1_iilT2_iilT3_iilPiS8_S8_.num_named_barrier, max(0, .L__assert_fail.num_named_barrier)
	.set _ZN9rocsolver6v33100L14bdsqr_finalizeIddPdS2_S2_EEviiiiPT0_lS4_lT1_iilT2_iilT3_iilPiS8_S8_.private_seg_size, 0+max(.L__assert_fail.private_seg_size)
	.set _ZN9rocsolver6v33100L14bdsqr_finalizeIddPdS2_S2_EEviiiiPT0_lS4_lT1_iilT2_iilT3_iilPiS8_S8_.uses_vcc, or(1, .L__assert_fail.uses_vcc)
	.set _ZN9rocsolver6v33100L14bdsqr_finalizeIddPdS2_S2_EEviiiiPT0_lS4_lT1_iilT2_iilT3_iilPiS8_S8_.uses_flat_scratch, or(1, .L__assert_fail.uses_flat_scratch)
	.set _ZN9rocsolver6v33100L14bdsqr_finalizeIddPdS2_S2_EEviiiiPT0_lS4_lT1_iilT2_iilT3_iilPiS8_S8_.has_dyn_sized_stack, or(0, .L__assert_fail.has_dyn_sized_stack)
	.set _ZN9rocsolver6v33100L14bdsqr_finalizeIddPdS2_S2_EEviiiiPT0_lS4_lT1_iilT2_iilT3_iilPiS8_S8_.has_recursion, or(0, .L__assert_fail.has_recursion)
	.set _ZN9rocsolver6v33100L14bdsqr_finalizeIddPdS2_S2_EEviiiiPT0_lS4_lT1_iilT2_iilT3_iilPiS8_S8_.has_indirect_call, or(0, .L__assert_fail.has_indirect_call)
	.section	.AMDGPU.csdata,"",@progbits
; Kernel info:
; codeLenInByte = 9212
; TotalNumSgprs: 66
; NumVgprs: 44
; ScratchSize: 64
; MemoryBound: 0
; FloatMode: 240
; IeeeMode: 1
; LDSByteSize: 0 bytes/workgroup (compile time only)
; SGPRBlocks: 0
; VGPRBlocks: 5
; NumSGPRsForWavesPerEU: 66
; NumVGPRsForWavesPerEU: 44
; Occupancy: 16
; WaveLimiterHint : 1
; COMPUTE_PGM_RSRC2:SCRATCH_EN: 1
; COMPUTE_PGM_RSRC2:USER_SGPR: 8
; COMPUTE_PGM_RSRC2:TRAP_HANDLER: 0
; COMPUTE_PGM_RSRC2:TGID_X_EN: 1
; COMPUTE_PGM_RSRC2:TGID_Y_EN: 1
; COMPUTE_PGM_RSRC2:TGID_Z_EN: 0
; COMPUTE_PGM_RSRC2:TIDIG_COMP_CNT: 2
	.section	.text._ZN9rocsolver6v33100L10bdsqr_initI19rocblas_complex_numIfEfEEviPT0_lS5_lPiiS4_S4_S6_S5_lS6_,"axG",@progbits,_ZN9rocsolver6v33100L10bdsqr_initI19rocblas_complex_numIfEfEEviPT0_lS5_lPiiS4_S4_S6_S5_lS6_,comdat
	.globl	_ZN9rocsolver6v33100L10bdsqr_initI19rocblas_complex_numIfEfEEviPT0_lS5_lPiiS4_S4_S6_S5_lS6_ ; -- Begin function _ZN9rocsolver6v33100L10bdsqr_initI19rocblas_complex_numIfEfEEviPT0_lS5_lPiiS4_S4_S6_S5_lS6_
	.p2align	8
	.type	_ZN9rocsolver6v33100L10bdsqr_initI19rocblas_complex_numIfEfEEviPT0_lS5_lPiiS4_S4_S6_S5_lS6_,@function
_ZN9rocsolver6v33100L10bdsqr_initI19rocblas_complex_numIfEfEEviPT0_lS5_lPiiS4_S4_S6_S5_lS6_: ; @_ZN9rocsolver6v33100L10bdsqr_initI19rocblas_complex_numIfEfEEviPT0_lS5_lPiiS4_S4_S6_S5_lS6_
; %bb.0:
	s_clause 0x1
	s_load_dword s2, s[4:5], 0x0
	s_load_dwordx8 s[8:15], s[4:5], 0x8
	s_mov_b32 s6, s7
	s_ashr_i32 s7, s7, 31
	s_waitcnt lgkmcnt(0)
	s_ashr_i32 s3, s2, 31
	s_mul_hi_u32 s1, s10, s6
	s_mul_i32 s16, s10, s7
	s_mul_i32 s11, s11, s6
	s_add_i32 s1, s1, s16
	s_mul_i32 s0, s10, s6
	s_add_i32 s1, s1, s11
	s_mul_hi_u32 s10, s14, s6
	s_lshl_b64 s[0:1], s[0:1], 2
	s_mul_i32 s11, s14, s7
	s_add_u32 s18, s8, s0
	s_mul_i32 s15, s15, s6
	s_addc_u32 s19, s9, s1
	s_add_i32 s1, s10, s11
	s_mul_i32 s0, s14, s6
	s_add_i32 s1, s1, s15
	s_load_dword s8, s[18:19], 0x0
	s_lshl_b64 s[0:1], s[0:1], 2
	v_cmp_lt_i64_e64 s9, s[2:3], 2
	s_add_u32 s22, s12, s0
	s_addc_u32 s23, s13, s1
	s_lshl_b64 s[0:1], s[2:3], 2
	v_cmp_gt_i64_e64 s28, s[2:3], 1
	s_add_u32 s16, s18, s0
	s_addc_u32 s17, s19, s1
	s_add_u32 s0, s16, -4
	s_addc_u32 s1, s17, -1
	s_load_dword s1, s[0:1], 0x0
	s_load_dwordx2 s[20:21], s[4:5], 0x28
	s_and_b32 vcc_lo, exec_lo, s9
	s_waitcnt lgkmcnt(0)
	v_mov_b32_e32 v0, s8
	v_cmp_ge_f32_e64 s0, s8, s1
	v_cndmask_b32_e64 v0, s1, v0, s0
	v_and_b32_e32 v3, 0x7fffffff, v0
	s_cbranch_vccnz .LBB25_3
; %bb.1:
	v_mov_b32_e32 v0, v3
	s_add_i32 s1, s2, -2
	s_mov_b32 s3, 1
	s_inst_prefetch 0x1
	.p2align	6
.LBB25_2:                               ; =>This Inner Loop Header: Depth=1
	s_and_b32 s8, s0, exec_lo
	s_cselect_b32 s8, s3, s1
	s_add_i32 s9, s3, -1
	s_and_b32 s10, s0, exec_lo
	s_cselect_b32 s10, s9, s1
	s_ashr_i32 s11, s10, 31
	s_lshl_b64 s[10:11], s[10:11], 2
	s_add_u32 s10, s22, s10
	s_addc_u32 s11, s23, s11
	s_load_dword s9, s[10:11], 0x0
	s_waitcnt lgkmcnt(0)
	v_add_f32_e64 v1, v0, |s9|
	s_ashr_i32 s9, s8, 31
	s_lshl_b64 s[8:9], s[8:9], 2
	v_div_scale_f32 v2, null, v1, v1, v0
	v_div_scale_f32 v6, vcc_lo, v0, v1, v0
	s_add_u32 s8, s18, s8
	v_rcp_f32_e32 v4, v2
	s_addc_u32 s9, s19, s9
	s_add_i32 s3, s3, 1
	s_load_dword s8, s[8:9], 0x0
	s_add_i32 s1, s1, -1
	s_cmp_lg_u32 s3, s2
	v_fma_f32 v5, -v2, v4, 1.0
	v_fmac_f32_e32 v4, v5, v4
	v_mul_f32_e32 v5, v6, v4
	v_fma_f32 v7, -v2, v5, v6
	v_fmac_f32_e32 v5, v7, v4
	v_fma_f32 v2, -v2, v5, v6
	v_div_fmas_f32 v2, v2, v4, v5
	v_div_fixup_f32 v0, v2, v1, v0
	s_waitcnt lgkmcnt(0)
	v_mul_f32_e64 v0, |s8|, v0
	v_cmp_lt_f32_e32 vcc_lo, v0, v3
	v_cndmask_b32_e32 v3, v3, v0, vcc_lo
	s_cbranch_scc1 .LBB25_2
.LBB25_3:
	s_inst_prefetch 0x2
	v_cvt_f64_i32_e32 v[0:1], s2
	s_load_dwordx8 s[8:15], s[4:5], 0x40
	s_lshl_b32 s27, s2, 1
	s_load_dwordx4 s[36:39], s[4:5], 0x30
	s_mul_i32 s0, s27, s6
	s_mov_b32 s29, 0
	s_ashr_i32 s1, s0, 31
	s_lshl_b64 s[24:25], s[0:1], 2
	s_waitcnt lgkmcnt(0)
	s_mul_i32 s0, s12, s7
	v_cmp_gt_f64_e32 vcc_lo, 0x10000000, v[0:1]
	s_mul_hi_u32 s1, s12, s6
	s_add_u32 s26, s8, s24
	s_mul_i32 s3, s13, s6
	s_addc_u32 s13, s9, s25
	s_add_i32 s1, s1, s0
	s_mul_i32 s0, s12, s6
	s_add_i32 s1, s1, s3
	s_mov_b32 s12, 0
	s_lshl_b64 s[0:1], s[0:1], 2
	s_add_u32 s0, s10, s0
	s_addc_u32 s1, s11, s1
	s_add_i32 s3, s2, -1
	s_and_b32 s10, vcc_lo, exec_lo
	s_cselect_b32 s10, 0x100, 0
	v_ldexp_f64 v[0:1], v[0:1], s10
	s_cselect_b32 s10, 0xffffff80, 0
	v_rsq_f64_e32 v[4:5], v[0:1]
	v_cmp_class_f64_e64 vcc_lo, v[0:1], 0x260
	v_mul_f64 v[6:7], v[0:1], v[4:5]
	v_mul_f64 v[4:5], v[4:5], 0.5
	v_fma_f64 v[8:9], -v[4:5], v[6:7], 0.5
	v_fma_f64 v[6:7], v[6:7], v[8:9], v[6:7]
	v_fma_f64 v[4:5], v[4:5], v[8:9], v[4:5]
	v_fma_f64 v[8:9], -v[6:7], v[6:7], v[0:1]
	v_fma_f64 v[6:7], v[8:9], v[4:5], v[6:7]
	v_fma_f64 v[8:9], -v[6:7], v[6:7], v[0:1]
	v_fma_f64 v[4:5], v[8:9], v[4:5], v[6:7]
	v_ldexp_f64 v[4:5], v[4:5], s10
	v_cndmask_b32_e32 v1, v5, v1, vcc_lo
	v_cndmask_b32_e32 v0, v4, v0, vcc_lo
	v_cvt_f32_f64_e32 v0, v[0:1]
	v_mul_f32_e32 v1, s38, v3
	v_div_scale_f32 v2, null, v0, v0, v1
	v_div_scale_f32 v6, vcc_lo, v1, v0, v1
	v_rcp_f32_e32 v4, v2
	v_fma_f32 v5, -v2, v4, 1.0
	v_fmac_f32_e32 v4, v5, v4
	v_mul_f32_e32 v5, v6, v4
	v_fma_f32 v7, -v2, v5, v6
	v_fmac_f32_e32 v5, v7, v4
	v_fma_f32 v2, -v2, v5, v6
	v_cvt_f32_i32_e32 v6, s36
	v_div_fmas_f32 v2, v2, v4, v5
	v_mul_f32_e32 v4, s37, v6
	v_cndmask_b32_e64 v5, 0, 1, s28
	v_div_fixup_f32 v1, v2, v0, v1
	v_mov_b32_e32 v0, 0
	v_cmp_lt_f32_e32 vcc_lo, v1, v4
	v_cndmask_b32_e32 v4, v1, v4, vcc_lo
	s_andn2_b32 vcc_lo, exec_lo, s28
	s_mov_b32 s28, 0
	global_store_dwordx2 v0, v[3:4], s[0:1]
	s_cbranch_vccnz .LBB25_15
; %bb.4:
	s_add_u32 s4, s8, s24
	s_addc_u32 s5, s9, s25
	s_add_u32 s4, s4, 8
	s_addc_u32 s5, s5, 0
	s_mov_b32 s24, 0
	s_mov_b64 s[8:9], 0
	s_branch .LBB25_7
.LBB25_5:                               ;   in Loop: Header=BB25_7 Depth=1
	s_mov_b32 s24, s25
.LBB25_6:                               ;   in Loop: Header=BB25_7 Depth=1
	v_and_b32_e32 v2, 0x7fffffff, v2
	s_waitcnt vmcnt(0)
	v_cmp_nlg_f32_e64 s10, 0x7f800000, |v1|
	v_cmp_nlg_f32_e32 vcc_lo, 0x7f800000, v2
	s_or_b32 s10, s10, vcc_lo
	s_or_b32 s29, s10, s29
	s_add_u32 s4, s4, 16
	s_addc_u32 s5, s5, 0
	s_add_u32 s8, s8, 4
	s_addc_u32 s9, s9, 0
	s_cmp_eq_u32 s3, s24
	s_cbranch_scc1 .LBB25_15
.LBB25_7:                               ; =>This Inner Loop Header: Depth=1
	s_add_i32 s10, s8, 3
	s_cmp_ge_i32 s10, s27
	s_cbranch_scc1 .LBB25_9
; %bb.8:                                ;   in Loop: Header=BB25_7 Depth=1
	v_mov_b32_e32 v1, v0
	v_mov_b32_e32 v2, v0
	;; [unrolled: 1-line block ×3, first 2 shown]
	global_store_dwordx4 v0, v[0:3], s[4:5] offset:-8
	s_waitcnt_vscnt null, 0x0
	buffer_gl1_inv
	buffer_gl0_inv
.LBB25_9:                               ;   in Loop: Header=BB25_7 Depth=1
	s_add_u32 s30, s18, s8
	s_addc_u32 s31, s19, s9
	s_add_u32 s10, s22, s8
	s_addc_u32 s11, s23, s9
	s_clause 0x1
	global_load_dword v2, v0, s[10:11]
	global_load_dword v1, v0, s[30:31]
	s_mov_b32 s30, -1
	s_waitcnt vmcnt(1)
	v_cmp_lt_f32_e64 s25, |v2|, v4
	s_and_b32 vcc_lo, exec_lo, s25
                                        ; implicit-def: $sgpr25
	s_cbranch_vccnz .LBB25_11
; %bb.10:                               ;   in Loop: Header=BB25_7 Depth=1
	s_add_i32 s25, s24, 1
	s_mov_b32 s30, 0
.LBB25_11:                              ;   in Loop: Header=BB25_7 Depth=1
	s_andn2_b32 vcc_lo, exec_lo, s30
	s_cbranch_vccnz .LBB25_5
; %bb.12:                               ;   in Loop: Header=BB25_7 Depth=1
	s_cmp_ge_i32 s28, s24
	global_store_dword v0, v0, s[10:11]
	s_cbranch_scc1 .LBB25_14
; %bb.13:                               ;   in Loop: Header=BB25_7 Depth=1
	s_lshl_b32 s10, s12, 2
	v_mov_b32_e32 v6, s28
	s_ashr_i32 s11, s10, 31
	v_mov_b32_e32 v7, s24
	s_lshl_b64 s[10:11], s[10:11], 2
	s_add_i32 s12, s12, 1
	s_add_u32 s10, s26, s10
	s_addc_u32 s11, s13, s11
	global_store_dwordx2 v0, v[6:7], s[10:11] offset:4
.LBB25_14:                              ;   in Loop: Header=BB25_7 Depth=1
	s_add_i32 s28, s24, 1
	s_mov_b32 s24, s28
	s_branch .LBB25_6
.LBB25_15:
	v_mov_b32_e32 v1, 0
	s_cmp_lt_i32 s28, s3
	global_load_dword v0, v1, s[16:17] offset:-4
	s_cbranch_scc0 .LBB25_17
; %bb.16:
	s_lshl_b32 s4, s12, 2
	v_mov_b32_e32 v2, s28
	s_ashr_i32 s5, s4, 31
	v_mov_b32_e32 v3, s3
	s_lshl_b64 s[4:5], s[4:5], 2
	s_add_u32 s4, s26, s4
	s_addc_u32 s5, s13, s5
	global_store_dwordx2 v1, v[2:3], s[4:5] offset:4
.LBB25_17:
	s_waitcnt vmcnt(0)
	v_cmp_nlg_f32_e64 s4, 0x7f800000, |v0|
	s_or_b32 s4, s4, s29
	s_andn2_b32 vcc_lo, exec_lo, s4
	s_mov_b32 s4, -1
	s_cbranch_vccz .LBB25_22
; %bb.18:
	s_add_i32 s5, s12, 1
	s_lshl_b64 s[8:9], s[6:7], 2
	v_mov_b32_e32 v1, 0
	v_cvt_f32_i32_e32 v0, s5
	s_add_u32 s8, s20, s8
	s_addc_u32 s9, s21, s9
	s_mov_b32 s4, 0
	s_cmp_lt_i32 s12, 0
	global_store_dwordx2 v1, v[0:1], s[0:1] offset:8
	global_store_dword v1, v1, s[8:9]
	s_cbranch_scc1 .LBB25_22
; %bb.19:
	v_mov_b32_e32 v3, 0
	s_mov_b32 s0, 0
.LBB25_20:                              ; =>This Inner Loop Header: Depth=1
	v_mov_b32_e32 v2, s5
	global_atomic_cmpswap v3, v1, v[2:3], s[14:15] offset:4 glc
	s_waitcnt vmcnt(0)
	v_cmp_lt_i32_e32 vcc_lo, s12, v3
	s_or_b32 s0, vcc_lo, s0
	s_andn2_b32 exec_lo, exec_lo, s0
	s_cbranch_execnz .LBB25_20
; %bb.21:
	s_or_b32 exec_lo, exec_lo, s0
.LBB25_22:
	s_andn2_b32 vcc_lo, exec_lo, s4
	s_cbranch_vccnz .LBB25_28
; %bb.23:
	v_cmp_ne_u32_e32 vcc_lo, 1, v5
	s_cbranch_vccnz .LBB25_26
; %bb.24:
	v_mov_b32_e32 v0, 0
	v_mov_b32_e32 v1, 0x7fc00000
.LBB25_25:                              ; =>This Inner Loop Header: Depth=1
	s_add_i32 s3, s3, -1
	global_store_dword v0, v1, s[18:19]
	global_store_dword v0, v1, s[22:23]
	s_add_u32 s18, s18, 4
	s_addc_u32 s19, s19, 0
	s_add_u32 s22, s22, 4
	s_addc_u32 s23, s23, 0
	s_cmp_eq_u32 s3, 0
	s_cbranch_scc0 .LBB25_25
.LBB25_26:
	v_mov_b32_e32 v0, 0
	v_mov_b32_e32 v1, 0x7fc00000
	s_mov_b32 s0, exec_lo
	s_lshl_b64 s[4:5], s[6:7], 2
	v_mbcnt_lo_u32_b32 v2, s0, 0
	s_add_u32 s6, s20, s4
	global_store_dword v0, v1, s[16:17] offset:-4
	v_mov_b32_e32 v1, s2
	v_mov_b32_e32 v3, 2
	s_addc_u32 s7, s21, s5
	s_add_u32 s2, s14, s4
	s_addc_u32 s3, s15, s5
	global_store_dword v0, v1, s[6:7]
	global_store_dword v0, v3, s[2:3] offset:8
	s_mov_b32 s1, exec_lo
	v_cmpx_eq_u32_e32 0, v2
	s_cbranch_execz .LBB25_28
; %bb.27:
	s_bcnt1_i32_b32 s0, s0
	v_mov_b32_e32 v1, s0
	global_atomic_add v0, v1, s[14:15]
.LBB25_28:
	s_endpgm
	.section	.rodata,"a",@progbits
	.p2align	6, 0x0
	.amdhsa_kernel _ZN9rocsolver6v33100L10bdsqr_initI19rocblas_complex_numIfEfEEviPT0_lS5_lPiiS4_S4_S6_S5_lS6_
		.amdhsa_group_segment_fixed_size 0
		.amdhsa_private_segment_fixed_size 0
		.amdhsa_kernarg_size 96
		.amdhsa_user_sgpr_count 6
		.amdhsa_user_sgpr_private_segment_buffer 1
		.amdhsa_user_sgpr_dispatch_ptr 0
		.amdhsa_user_sgpr_queue_ptr 0
		.amdhsa_user_sgpr_kernarg_segment_ptr 1
		.amdhsa_user_sgpr_dispatch_id 0
		.amdhsa_user_sgpr_flat_scratch_init 0
		.amdhsa_user_sgpr_private_segment_size 0
		.amdhsa_wavefront_size32 1
		.amdhsa_uses_dynamic_stack 0
		.amdhsa_system_sgpr_private_segment_wavefront_offset 0
		.amdhsa_system_sgpr_workgroup_id_x 1
		.amdhsa_system_sgpr_workgroup_id_y 1
		.amdhsa_system_sgpr_workgroup_id_z 0
		.amdhsa_system_sgpr_workgroup_info 0
		.amdhsa_system_vgpr_workitem_id 0
		.amdhsa_next_free_vgpr 10
		.amdhsa_next_free_sgpr 40
		.amdhsa_reserve_vcc 1
		.amdhsa_reserve_flat_scratch 0
		.amdhsa_float_round_mode_32 0
		.amdhsa_float_round_mode_16_64 0
		.amdhsa_float_denorm_mode_32 3
		.amdhsa_float_denorm_mode_16_64 3
		.amdhsa_dx10_clamp 1
		.amdhsa_ieee_mode 1
		.amdhsa_fp16_overflow 0
		.amdhsa_workgroup_processor_mode 1
		.amdhsa_memory_ordered 1
		.amdhsa_forward_progress 1
		.amdhsa_shared_vgpr_count 0
		.amdhsa_exception_fp_ieee_invalid_op 0
		.amdhsa_exception_fp_denorm_src 0
		.amdhsa_exception_fp_ieee_div_zero 0
		.amdhsa_exception_fp_ieee_overflow 0
		.amdhsa_exception_fp_ieee_underflow 0
		.amdhsa_exception_fp_ieee_inexact 0
		.amdhsa_exception_int_div_zero 0
	.end_amdhsa_kernel
	.section	.text._ZN9rocsolver6v33100L10bdsqr_initI19rocblas_complex_numIfEfEEviPT0_lS5_lPiiS4_S4_S6_S5_lS6_,"axG",@progbits,_ZN9rocsolver6v33100L10bdsqr_initI19rocblas_complex_numIfEfEEviPT0_lS5_lPiiS4_S4_S6_S5_lS6_,comdat
.Lfunc_end25:
	.size	_ZN9rocsolver6v33100L10bdsqr_initI19rocblas_complex_numIfEfEEviPT0_lS5_lPiiS4_S4_S6_S5_lS6_, .Lfunc_end25-_ZN9rocsolver6v33100L10bdsqr_initI19rocblas_complex_numIfEfEEviPT0_lS5_lPiiS4_S4_S6_S5_lS6_
                                        ; -- End function
	.set _ZN9rocsolver6v33100L10bdsqr_initI19rocblas_complex_numIfEfEEviPT0_lS5_lPiiS4_S4_S6_S5_lS6_.num_vgpr, 10
	.set _ZN9rocsolver6v33100L10bdsqr_initI19rocblas_complex_numIfEfEEviPT0_lS5_lPiiS4_S4_S6_S5_lS6_.num_agpr, 0
	.set _ZN9rocsolver6v33100L10bdsqr_initI19rocblas_complex_numIfEfEEviPT0_lS5_lPiiS4_S4_S6_S5_lS6_.numbered_sgpr, 40
	.set _ZN9rocsolver6v33100L10bdsqr_initI19rocblas_complex_numIfEfEEviPT0_lS5_lPiiS4_S4_S6_S5_lS6_.num_named_barrier, 0
	.set _ZN9rocsolver6v33100L10bdsqr_initI19rocblas_complex_numIfEfEEviPT0_lS5_lPiiS4_S4_S6_S5_lS6_.private_seg_size, 0
	.set _ZN9rocsolver6v33100L10bdsqr_initI19rocblas_complex_numIfEfEEviPT0_lS5_lPiiS4_S4_S6_S5_lS6_.uses_vcc, 1
	.set _ZN9rocsolver6v33100L10bdsqr_initI19rocblas_complex_numIfEfEEviPT0_lS5_lPiiS4_S4_S6_S5_lS6_.uses_flat_scratch, 0
	.set _ZN9rocsolver6v33100L10bdsqr_initI19rocblas_complex_numIfEfEEviPT0_lS5_lPiiS4_S4_S6_S5_lS6_.has_dyn_sized_stack, 0
	.set _ZN9rocsolver6v33100L10bdsqr_initI19rocblas_complex_numIfEfEEviPT0_lS5_lPiiS4_S4_S6_S5_lS6_.has_recursion, 0
	.set _ZN9rocsolver6v33100L10bdsqr_initI19rocblas_complex_numIfEfEEviPT0_lS5_lPiiS4_S4_S6_S5_lS6_.has_indirect_call, 0
	.section	.AMDGPU.csdata,"",@progbits
; Kernel info:
; codeLenInByte = 1468
; TotalNumSgprs: 42
; NumVgprs: 10
; ScratchSize: 0
; MemoryBound: 0
; FloatMode: 240
; IeeeMode: 1
; LDSByteSize: 0 bytes/workgroup (compile time only)
; SGPRBlocks: 0
; VGPRBlocks: 1
; NumSGPRsForWavesPerEU: 42
; NumVGPRsForWavesPerEU: 10
; Occupancy: 16
; WaveLimiterHint : 0
; COMPUTE_PGM_RSRC2:SCRATCH_EN: 0
; COMPUTE_PGM_RSRC2:USER_SGPR: 6
; COMPUTE_PGM_RSRC2:TRAP_HANDLER: 0
; COMPUTE_PGM_RSRC2:TGID_X_EN: 1
; COMPUTE_PGM_RSRC2:TGID_Y_EN: 1
; COMPUTE_PGM_RSRC2:TGID_Z_EN: 0
; COMPUTE_PGM_RSRC2:TIDIG_COMP_CNT: 0
	.section	.text._ZN9rocsolver6v33100L11swap_kernelI19rocblas_complex_numIfEiEEvT0_PT_S4_S6_S4_,"axG",@progbits,_ZN9rocsolver6v33100L11swap_kernelI19rocblas_complex_numIfEiEEvT0_PT_S4_S6_S4_,comdat
	.globl	_ZN9rocsolver6v33100L11swap_kernelI19rocblas_complex_numIfEiEEvT0_PT_S4_S6_S4_ ; -- Begin function _ZN9rocsolver6v33100L11swap_kernelI19rocblas_complex_numIfEiEEvT0_PT_S4_S6_S4_
	.p2align	8
	.type	_ZN9rocsolver6v33100L11swap_kernelI19rocblas_complex_numIfEiEEvT0_PT_S4_S6_S4_,@function
_ZN9rocsolver6v33100L11swap_kernelI19rocblas_complex_numIfEiEEvT0_PT_S4_S6_S4_: ; @_ZN9rocsolver6v33100L11swap_kernelI19rocblas_complex_numIfEiEEvT0_PT_S4_S6_S4_
; %bb.0:
	s_load_dword s12, s[4:5], 0x0
	s_waitcnt lgkmcnt(0)
	s_cmp_lt_i32 s12, 1
	s_cbranch_scc1 .LBB26_10
; %bb.1:
	s_clause 0x5
	s_load_dword s0, s[4:5], 0x34
	s_load_dword s1, s[4:5], 0x10
	;; [unrolled: 1-line block ×4, first 2 shown]
	s_load_dwordx2 s[2:3], s[4:5], 0x8
	s_load_dwordx2 s[4:5], s[4:5], 0x18
	s_waitcnt lgkmcnt(0)
	s_and_b32 s0, s0, 0xffff
	s_cmp_eq_u32 s1, 1
	v_mad_u64_u32 v[0:1], null, s6, s0, v[0:1]
	s_cselect_b32 s9, -1, 0
	s_cmp_eq_u32 s8, 1
	s_mul_i32 s6, s7, s0
	s_cselect_b32 s10, -1, 0
	s_and_b32 s7, s9, s10
	v_cmp_gt_i32_e64 s0, s12, v0
	s_and_b32 vcc_lo, exec_lo, s7
	s_mov_b32 s7, -1
	s_cbranch_vccnz .LBB26_6
; %bb.2:
	s_and_saveexec_b32 s7, s0
	s_cbranch_execz .LBB26_5
; %bb.3:
	v_mad_i64_i32 v[1:2], null, s8, v0, 0
	v_mad_i64_i32 v[3:4], null, s1, v0, 0
	v_mov_b32_e32 v5, v0
	s_mul_hi_i32 s9, s8, s6
	s_mul_i32 s8, s8, s6
	s_mul_hi_i32 s11, s1, s6
	v_lshlrev_b64 v[1:2], 3, v[1:2]
	s_mul_i32 s10, s1, s6
	v_lshlrev_b64 v[3:4], 3, v[3:4]
	s_lshl_b64 s[8:9], s[8:9], 3
	s_lshl_b64 s[10:11], s[10:11], 3
	s_mov_b32 s13, 0
	v_add_co_u32 v1, vcc_lo, s4, v1
	v_add_co_ci_u32_e64 v2, null, s5, v2, vcc_lo
	v_add_co_u32 v3, vcc_lo, s2, v3
	v_add_co_ci_u32_e64 v4, null, s3, v4, vcc_lo
	.p2align	6
.LBB26_4:                               ; =>This Inner Loop Header: Depth=1
	global_load_dwordx2 v[6:7], v[3:4], off
	global_load_dwordx2 v[8:9], v[1:2], off
	v_add_nc_u32_e32 v5, s6, v5
	s_waitcnt vmcnt(1)
	global_store_dwordx2 v[1:2], v[6:7], off
	s_waitcnt vmcnt(0)
	global_store_dwordx2 v[3:4], v[8:9], off
	v_add_co_u32 v1, s1, v1, s8
	v_cmp_le_i32_e32 vcc_lo, s12, v5
	v_add_co_ci_u32_e64 v2, null, s9, v2, s1
	v_add_co_u32 v3, s1, v3, s10
	v_add_co_ci_u32_e64 v4, null, s11, v4, s1
	s_or_b32 s13, vcc_lo, s13
	s_andn2_b32 exec_lo, exec_lo, s13
	s_cbranch_execnz .LBB26_4
.LBB26_5:
	s_or_b32 exec_lo, exec_lo, s7
	s_mov_b32 s7, 0
.LBB26_6:
	s_andn2_b32 vcc_lo, exec_lo, s7
	s_cbranch_vccnz .LBB26_10
; %bb.7:
	s_and_saveexec_b32 s1, s0
	s_cbranch_execz .LBB26_10
; %bb.8:
	v_ashrrev_i32_e32 v1, 31, v0
	s_ashr_i32 s7, s6, 31
	s_mov_b32 s1, 0
	s_lshl_b64 s[8:9], s[6:7], 3
	v_lshlrev_b64 v[1:2], 3, v[0:1]
	.p2align	6
.LBB26_9:                               ; =>This Inner Loop Header: Depth=1
	v_add_co_u32 v3, vcc_lo, s2, v1
	v_add_co_ci_u32_e64 v4, null, s3, v2, vcc_lo
	v_add_co_u32 v5, vcc_lo, s4, v1
	v_add_co_ci_u32_e64 v6, null, s5, v2, vcc_lo
	global_load_dwordx2 v[7:8], v[3:4], off
	global_load_dwordx2 v[9:10], v[5:6], off
	v_add_nc_u32_e32 v0, s6, v0
	v_add_co_u32 v1, s0, v1, s8
	v_add_co_ci_u32_e64 v2, null, s9, v2, s0
	v_cmp_le_i32_e32 vcc_lo, s12, v0
	s_waitcnt vmcnt(1)
	global_store_dwordx2 v[5:6], v[7:8], off
	s_waitcnt vmcnt(0)
	global_store_dwordx2 v[3:4], v[9:10], off
	s_or_b32 s1, vcc_lo, s1
	s_andn2_b32 exec_lo, exec_lo, s1
	s_cbranch_execnz .LBB26_9
.LBB26_10:
	s_endpgm
	.section	.rodata,"a",@progbits
	.p2align	6, 0x0
	.amdhsa_kernel _ZN9rocsolver6v33100L11swap_kernelI19rocblas_complex_numIfEiEEvT0_PT_S4_S6_S4_
		.amdhsa_group_segment_fixed_size 0
		.amdhsa_private_segment_fixed_size 0
		.amdhsa_kernarg_size 296
		.amdhsa_user_sgpr_count 6
		.amdhsa_user_sgpr_private_segment_buffer 1
		.amdhsa_user_sgpr_dispatch_ptr 0
		.amdhsa_user_sgpr_queue_ptr 0
		.amdhsa_user_sgpr_kernarg_segment_ptr 1
		.amdhsa_user_sgpr_dispatch_id 0
		.amdhsa_user_sgpr_flat_scratch_init 0
		.amdhsa_user_sgpr_private_segment_size 0
		.amdhsa_wavefront_size32 1
		.amdhsa_uses_dynamic_stack 0
		.amdhsa_system_sgpr_private_segment_wavefront_offset 0
		.amdhsa_system_sgpr_workgroup_id_x 1
		.amdhsa_system_sgpr_workgroup_id_y 0
		.amdhsa_system_sgpr_workgroup_id_z 0
		.amdhsa_system_sgpr_workgroup_info 0
		.amdhsa_system_vgpr_workitem_id 0
		.amdhsa_next_free_vgpr 11
		.amdhsa_next_free_sgpr 14
		.amdhsa_reserve_vcc 1
		.amdhsa_reserve_flat_scratch 0
		.amdhsa_float_round_mode_32 0
		.amdhsa_float_round_mode_16_64 0
		.amdhsa_float_denorm_mode_32 3
		.amdhsa_float_denorm_mode_16_64 3
		.amdhsa_dx10_clamp 1
		.amdhsa_ieee_mode 1
		.amdhsa_fp16_overflow 0
		.amdhsa_workgroup_processor_mode 1
		.amdhsa_memory_ordered 1
		.amdhsa_forward_progress 1
		.amdhsa_shared_vgpr_count 0
		.amdhsa_exception_fp_ieee_invalid_op 0
		.amdhsa_exception_fp_denorm_src 0
		.amdhsa_exception_fp_ieee_div_zero 0
		.amdhsa_exception_fp_ieee_overflow 0
		.amdhsa_exception_fp_ieee_underflow 0
		.amdhsa_exception_fp_ieee_inexact 0
		.amdhsa_exception_int_div_zero 0
	.end_amdhsa_kernel
	.section	.text._ZN9rocsolver6v33100L11swap_kernelI19rocblas_complex_numIfEiEEvT0_PT_S4_S6_S4_,"axG",@progbits,_ZN9rocsolver6v33100L11swap_kernelI19rocblas_complex_numIfEiEEvT0_PT_S4_S6_S4_,comdat
.Lfunc_end26:
	.size	_ZN9rocsolver6v33100L11swap_kernelI19rocblas_complex_numIfEiEEvT0_PT_S4_S6_S4_, .Lfunc_end26-_ZN9rocsolver6v33100L11swap_kernelI19rocblas_complex_numIfEiEEvT0_PT_S4_S6_S4_
                                        ; -- End function
	.set _ZN9rocsolver6v33100L11swap_kernelI19rocblas_complex_numIfEiEEvT0_PT_S4_S6_S4_.num_vgpr, 11
	.set _ZN9rocsolver6v33100L11swap_kernelI19rocblas_complex_numIfEiEEvT0_PT_S4_S6_S4_.num_agpr, 0
	.set _ZN9rocsolver6v33100L11swap_kernelI19rocblas_complex_numIfEiEEvT0_PT_S4_S6_S4_.numbered_sgpr, 14
	.set _ZN9rocsolver6v33100L11swap_kernelI19rocblas_complex_numIfEiEEvT0_PT_S4_S6_S4_.num_named_barrier, 0
	.set _ZN9rocsolver6v33100L11swap_kernelI19rocblas_complex_numIfEiEEvT0_PT_S4_S6_S4_.private_seg_size, 0
	.set _ZN9rocsolver6v33100L11swap_kernelI19rocblas_complex_numIfEiEEvT0_PT_S4_S6_S4_.uses_vcc, 1
	.set _ZN9rocsolver6v33100L11swap_kernelI19rocblas_complex_numIfEiEEvT0_PT_S4_S6_S4_.uses_flat_scratch, 0
	.set _ZN9rocsolver6v33100L11swap_kernelI19rocblas_complex_numIfEiEEvT0_PT_S4_S6_S4_.has_dyn_sized_stack, 0
	.set _ZN9rocsolver6v33100L11swap_kernelI19rocblas_complex_numIfEiEEvT0_PT_S4_S6_S4_.has_recursion, 0
	.set _ZN9rocsolver6v33100L11swap_kernelI19rocblas_complex_numIfEiEEvT0_PT_S4_S6_S4_.has_indirect_call, 0
	.section	.AMDGPU.csdata,"",@progbits
; Kernel info:
; codeLenInByte = 560
; TotalNumSgprs: 16
; NumVgprs: 11
; ScratchSize: 0
; MemoryBound: 0
; FloatMode: 240
; IeeeMode: 1
; LDSByteSize: 0 bytes/workgroup (compile time only)
; SGPRBlocks: 0
; VGPRBlocks: 1
; NumSGPRsForWavesPerEU: 16
; NumVGPRsForWavesPerEU: 11
; Occupancy: 16
; WaveLimiterHint : 0
; COMPUTE_PGM_RSRC2:SCRATCH_EN: 0
; COMPUTE_PGM_RSRC2:USER_SGPR: 6
; COMPUTE_PGM_RSRC2:TRAP_HANDLER: 0
; COMPUTE_PGM_RSRC2:TGID_X_EN: 1
; COMPUTE_PGM_RSRC2:TGID_Y_EN: 0
; COMPUTE_PGM_RSRC2:TGID_Z_EN: 0
; COMPUTE_PGM_RSRC2:TIDIG_COMP_CNT: 0
	.section	.text._ZN9rocsolver6v33100L10rot_kernelIf19rocblas_complex_numIfEiEEvT1_PT0_S4_S6_S4_T_S7_,"axG",@progbits,_ZN9rocsolver6v33100L10rot_kernelIf19rocblas_complex_numIfEiEEvT1_PT0_S4_S6_S4_T_S7_,comdat
	.globl	_ZN9rocsolver6v33100L10rot_kernelIf19rocblas_complex_numIfEiEEvT1_PT0_S4_S6_S4_T_S7_ ; -- Begin function _ZN9rocsolver6v33100L10rot_kernelIf19rocblas_complex_numIfEiEEvT1_PT0_S4_S6_S4_T_S7_
	.p2align	8
	.type	_ZN9rocsolver6v33100L10rot_kernelIf19rocblas_complex_numIfEiEEvT1_PT0_S4_S6_S4_T_S7_,@function
_ZN9rocsolver6v33100L10rot_kernelIf19rocblas_complex_numIfEiEEvT1_PT0_S4_S6_S4_T_S7_: ; @_ZN9rocsolver6v33100L10rot_kernelIf19rocblas_complex_numIfEiEEvT1_PT0_S4_S6_S4_T_S7_
; %bb.0:
	s_load_dword s16, s[4:5], 0x0
	s_waitcnt lgkmcnt(0)
	s_cmp_lt_i32 s16, 1
	s_cbranch_scc1 .LBB27_10
; %bb.1:
	s_clause 0x5
	s_load_dword s0, s[4:5], 0x3c
	s_load_dword s1, s[4:5], 0x10
	s_load_dwordx4 s[8:11], s[4:5], 0x20
	s_load_dword s7, s[4:5], 0x30
	s_load_dwordx2 s[2:3], s[4:5], 0x8
	s_load_dwordx2 s[4:5], s[4:5], 0x18
	s_waitcnt lgkmcnt(0)
	s_and_b32 s0, s0, 0xffff
	s_cmp_eq_u32 s1, 1
	v_mad_u64_u32 v[0:1], null, s6, s0, v[0:1]
	s_cselect_b32 s11, -1, 0
	s_cmp_eq_u32 s8, 1
	s_mul_i32 s6, s7, s0
	s_cselect_b32 s12, -1, 0
	s_and_b32 s7, s11, s12
	v_cmp_gt_i32_e64 s0, s16, v0
	s_and_b32 vcc_lo, exec_lo, s7
	s_mov_b32 s7, -1
	s_cbranch_vccnz .LBB27_6
; %bb.2:
	s_and_saveexec_b32 s7, s0
	s_cbranch_execz .LBB27_5
; %bb.3:
	v_mad_i64_i32 v[1:2], null, s8, v0, 0
	v_mad_i64_i32 v[3:4], null, s1, v0, 0
	v_mov_b32_e32 v5, v0
	s_mul_hi_i32 s13, s8, s6
	s_mul_i32 s12, s8, s6
	s_mul_hi_i32 s15, s1, s6
	v_lshlrev_b64 v[1:2], 3, v[1:2]
	s_mul_i32 s14, s1, s6
	v_lshlrev_b64 v[3:4], 3, v[3:4]
	s_lshl_b64 s[12:13], s[12:13], 3
	s_lshl_b64 s[14:15], s[14:15], 3
	s_mov_b32 s8, 0
	v_add_co_u32 v1, vcc_lo, s4, v1
	v_add_co_ci_u32_e64 v2, null, s5, v2, vcc_lo
	v_add_co_u32 v3, vcc_lo, s2, v3
	v_add_co_ci_u32_e64 v4, null, s3, v4, vcc_lo
	;; [unrolled: 2-line block ×4, first 2 shown]
	.p2align	6
.LBB27_4:                               ; =>This Inner Loop Header: Depth=1
	global_load_dwordx2 v[6:7], v[1:2], off offset:-4
	global_load_dwordx2 v[8:9], v[3:4], off offset:-4
	v_add_nc_u32_e32 v5, s6, v5
	v_cmp_le_i32_e32 vcc_lo, s16, v5
	s_or_b32 s8, vcc_lo, s8
	s_waitcnt vmcnt(1)
	v_mul_f32_e32 v10, s10, v6
	s_waitcnt vmcnt(0)
	v_mul_f32_e32 v12, s10, v8
	v_mul_f32_e32 v13, s10, v9
	;; [unrolled: 1-line block ×3, first 2 shown]
	v_fmac_f32_e32 v10, s9, v8
	v_fma_f32 v6, s9, v6, -v12
	v_fma_f32 v7, s9, v7, -v13
	v_fmac_f32_e32 v11, s9, v9
	global_store_dwordx2 v[1:2], v[6:7], off offset:-4
	global_store_dwordx2 v[3:4], v[10:11], off offset:-4
	v_add_co_u32 v1, s1, v1, s12
	v_add_co_ci_u32_e64 v2, null, s13, v2, s1
	v_add_co_u32 v3, s1, v3, s14
	v_add_co_ci_u32_e64 v4, null, s15, v4, s1
	s_andn2_b32 exec_lo, exec_lo, s8
	s_cbranch_execnz .LBB27_4
.LBB27_5:
	s_or_b32 exec_lo, exec_lo, s7
	s_mov_b32 s7, 0
.LBB27_6:
	s_andn2_b32 vcc_lo, exec_lo, s7
	s_cbranch_vccnz .LBB27_10
; %bb.7:
	s_and_saveexec_b32 s1, s0
	s_cbranch_execz .LBB27_10
; %bb.8:
	v_ashrrev_i32_e32 v1, 31, v0
	s_ashr_i32 s7, s6, 31
	s_mov_b32 s1, 0
	s_lshl_b64 s[12:13], s[6:7], 3
	v_lshlrev_b64 v[1:2], 3, v[0:1]
	s_inst_prefetch 0x1
	.p2align	6
.LBB27_9:                               ; =>This Inner Loop Header: Depth=1
	v_add_co_u32 v3, vcc_lo, s4, v1
	v_add_co_ci_u32_e64 v4, null, s5, v2, vcc_lo
	v_add_co_u32 v5, vcc_lo, s2, v1
	v_add_co_ci_u32_e64 v6, null, s3, v2, vcc_lo
	global_load_dwordx2 v[7:8], v[3:4], off
	global_load_dwordx2 v[9:10], v[5:6], off
	v_add_nc_u32_e32 v0, s6, v0
	v_add_co_u32 v1, vcc_lo, v1, s12
	v_add_co_ci_u32_e64 v2, null, s13, v2, vcc_lo
	v_cmp_le_i32_e64 s0, s16, v0
	s_or_b32 s1, s0, s1
	s_waitcnt vmcnt(1)
	v_mul_f32_e32 v11, s10, v7
	s_waitcnt vmcnt(0)
	v_mul_f32_e32 v13, s10, v9
	v_mul_f32_e32 v14, s10, v10
	;; [unrolled: 1-line block ×3, first 2 shown]
	v_fmac_f32_e32 v11, s9, v9
	v_fma_f32 v7, s9, v7, -v13
	v_fma_f32 v8, s9, v8, -v14
	v_fmac_f32_e32 v12, s9, v10
	global_store_dwordx2 v[3:4], v[7:8], off
	global_store_dwordx2 v[5:6], v[11:12], off
	s_andn2_b32 exec_lo, exec_lo, s1
	s_cbranch_execnz .LBB27_9
.LBB27_10:
	s_inst_prefetch 0x2
	s_endpgm
	.section	.rodata,"a",@progbits
	.p2align	6, 0x0
	.amdhsa_kernel _ZN9rocsolver6v33100L10rot_kernelIf19rocblas_complex_numIfEiEEvT1_PT0_S4_S6_S4_T_S7_
		.amdhsa_group_segment_fixed_size 0
		.amdhsa_private_segment_fixed_size 0
		.amdhsa_kernarg_size 304
		.amdhsa_user_sgpr_count 6
		.amdhsa_user_sgpr_private_segment_buffer 1
		.amdhsa_user_sgpr_dispatch_ptr 0
		.amdhsa_user_sgpr_queue_ptr 0
		.amdhsa_user_sgpr_kernarg_segment_ptr 1
		.amdhsa_user_sgpr_dispatch_id 0
		.amdhsa_user_sgpr_flat_scratch_init 0
		.amdhsa_user_sgpr_private_segment_size 0
		.amdhsa_wavefront_size32 1
		.amdhsa_uses_dynamic_stack 0
		.amdhsa_system_sgpr_private_segment_wavefront_offset 0
		.amdhsa_system_sgpr_workgroup_id_x 1
		.amdhsa_system_sgpr_workgroup_id_y 0
		.amdhsa_system_sgpr_workgroup_id_z 0
		.amdhsa_system_sgpr_workgroup_info 0
		.amdhsa_system_vgpr_workitem_id 0
		.amdhsa_next_free_vgpr 15
		.amdhsa_next_free_sgpr 17
		.amdhsa_reserve_vcc 1
		.amdhsa_reserve_flat_scratch 0
		.amdhsa_float_round_mode_32 0
		.amdhsa_float_round_mode_16_64 0
		.amdhsa_float_denorm_mode_32 3
		.amdhsa_float_denorm_mode_16_64 3
		.amdhsa_dx10_clamp 1
		.amdhsa_ieee_mode 1
		.amdhsa_fp16_overflow 0
		.amdhsa_workgroup_processor_mode 1
		.amdhsa_memory_ordered 1
		.amdhsa_forward_progress 1
		.amdhsa_shared_vgpr_count 0
		.amdhsa_exception_fp_ieee_invalid_op 0
		.amdhsa_exception_fp_denorm_src 0
		.amdhsa_exception_fp_ieee_div_zero 0
		.amdhsa_exception_fp_ieee_overflow 0
		.amdhsa_exception_fp_ieee_underflow 0
		.amdhsa_exception_fp_ieee_inexact 0
		.amdhsa_exception_int_div_zero 0
	.end_amdhsa_kernel
	.section	.text._ZN9rocsolver6v33100L10rot_kernelIf19rocblas_complex_numIfEiEEvT1_PT0_S4_S6_S4_T_S7_,"axG",@progbits,_ZN9rocsolver6v33100L10rot_kernelIf19rocblas_complex_numIfEiEEvT1_PT0_S4_S6_S4_T_S7_,comdat
.Lfunc_end27:
	.size	_ZN9rocsolver6v33100L10rot_kernelIf19rocblas_complex_numIfEiEEvT1_PT0_S4_S6_S4_T_S7_, .Lfunc_end27-_ZN9rocsolver6v33100L10rot_kernelIf19rocblas_complex_numIfEiEEvT1_PT0_S4_S6_S4_T_S7_
                                        ; -- End function
	.set _ZN9rocsolver6v33100L10rot_kernelIf19rocblas_complex_numIfEiEEvT1_PT0_S4_S6_S4_T_S7_.num_vgpr, 15
	.set _ZN9rocsolver6v33100L10rot_kernelIf19rocblas_complex_numIfEiEEvT1_PT0_S4_S6_S4_T_S7_.num_agpr, 0
	.set _ZN9rocsolver6v33100L10rot_kernelIf19rocblas_complex_numIfEiEEvT1_PT0_S4_S6_S4_T_S7_.numbered_sgpr, 17
	.set _ZN9rocsolver6v33100L10rot_kernelIf19rocblas_complex_numIfEiEEvT1_PT0_S4_S6_S4_T_S7_.num_named_barrier, 0
	.set _ZN9rocsolver6v33100L10rot_kernelIf19rocblas_complex_numIfEiEEvT1_PT0_S4_S6_S4_T_S7_.private_seg_size, 0
	.set _ZN9rocsolver6v33100L10rot_kernelIf19rocblas_complex_numIfEiEEvT1_PT0_S4_S6_S4_T_S7_.uses_vcc, 1
	.set _ZN9rocsolver6v33100L10rot_kernelIf19rocblas_complex_numIfEiEEvT1_PT0_S4_S6_S4_T_S7_.uses_flat_scratch, 0
	.set _ZN9rocsolver6v33100L10rot_kernelIf19rocblas_complex_numIfEiEEvT1_PT0_S4_S6_S4_T_S7_.has_dyn_sized_stack, 0
	.set _ZN9rocsolver6v33100L10rot_kernelIf19rocblas_complex_numIfEiEEvT1_PT0_S4_S6_S4_T_S7_.has_recursion, 0
	.set _ZN9rocsolver6v33100L10rot_kernelIf19rocblas_complex_numIfEiEEvT1_PT0_S4_S6_S4_T_S7_.has_indirect_call, 0
	.section	.AMDGPU.csdata,"",@progbits
; Kernel info:
; codeLenInByte = 672
; TotalNumSgprs: 19
; NumVgprs: 15
; ScratchSize: 0
; MemoryBound: 0
; FloatMode: 240
; IeeeMode: 1
; LDSByteSize: 0 bytes/workgroup (compile time only)
; SGPRBlocks: 0
; VGPRBlocks: 1
; NumSGPRsForWavesPerEU: 19
; NumVGPRsForWavesPerEU: 15
; Occupancy: 16
; WaveLimiterHint : 0
; COMPUTE_PGM_RSRC2:SCRATCH_EN: 0
; COMPUTE_PGM_RSRC2:USER_SGPR: 6
; COMPUTE_PGM_RSRC2:TRAP_HANDLER: 0
; COMPUTE_PGM_RSRC2:TGID_X_EN: 1
; COMPUTE_PGM_RSRC2:TGID_Y_EN: 0
; COMPUTE_PGM_RSRC2:TGID_Z_EN: 0
; COMPUTE_PGM_RSRC2:TIDIG_COMP_CNT: 0
	.section	.text._ZN9rocsolver6v33100L11lasr_kernelI19rocblas_complex_numIfEfPS3_iEEv13rocblas_side_14rocblas_pivot_15rocblas_direct_T2_S8_PT0_lSA_lT1_lS8_lS8_,"axG",@progbits,_ZN9rocsolver6v33100L11lasr_kernelI19rocblas_complex_numIfEfPS3_iEEv13rocblas_side_14rocblas_pivot_15rocblas_direct_T2_S8_PT0_lSA_lT1_lS8_lS8_,comdat
	.globl	_ZN9rocsolver6v33100L11lasr_kernelI19rocblas_complex_numIfEfPS3_iEEv13rocblas_side_14rocblas_pivot_15rocblas_direct_T2_S8_PT0_lSA_lT1_lS8_lS8_ ; -- Begin function _ZN9rocsolver6v33100L11lasr_kernelI19rocblas_complex_numIfEfPS3_iEEv13rocblas_side_14rocblas_pivot_15rocblas_direct_T2_S8_PT0_lSA_lT1_lS8_lS8_
	.p2align	8
	.type	_ZN9rocsolver6v33100L11lasr_kernelI19rocblas_complex_numIfEfPS3_iEEv13rocblas_side_14rocblas_pivot_15rocblas_direct_T2_S8_PT0_lSA_lT1_lS8_lS8_,@function
_ZN9rocsolver6v33100L11lasr_kernelI19rocblas_complex_numIfEfPS3_iEEv13rocblas_side_14rocblas_pivot_15rocblas_direct_T2_S8_PT0_lSA_lT1_lS8_lS8_: ; @_ZN9rocsolver6v33100L11lasr_kernelI19rocblas_complex_numIfEfPS3_iEEv13rocblas_side_14rocblas_pivot_15rocblas_direct_T2_S8_PT0_lSA_lT1_lS8_lS8_
; %bb.0:
	s_load_dword s33, s[4:5], 0x58
	s_waitcnt lgkmcnt(0)
	s_cmp_ge_u32 s7, s33
	s_cbranch_scc1 .LBB28_108
; %bb.1:
	s_clause 0x5
	s_load_dword s20, s[4:5], 0x48
	s_load_dwordx4 s[16:19], s[4:5], 0x38
	s_load_dwordx2 s[22:23], s[4:5], 0x68
	s_load_dwordx4 s[0:3], s[4:5], 0x0
	s_load_dword s56, s[4:5], 0x10
	s_load_dwordx8 s[8:15], s[4:5], 0x18
	v_mov_b32_e32 v36, 0
	s_waitcnt lgkmcnt(0)
	s_ashr_i32 s21, s20, 31
	s_lshl_b64 s[38:39], s[18:19], 3
	s_and_b32 s24, s23, 0xffff
	s_add_u32 s23, s16, s38
	s_addc_u32 s57, s17, s39
	s_cmpk_eq_i32 s0, 0x8d
	v_mad_u64_u32 v[0:1], null, s6, s24, v[0:1]
	s_cselect_b32 s25, -1, 0
	s_cmpk_eq_i32 s0, 0x8e
	s_cselect_b32 s26, -1, 0
	s_cmpk_eq_i32 s1, 0x119
	;; [unrolled: 2-line block ×3, first 2 shown]
	v_ashrrev_i32_e32 v1, 31, v0
	s_cselect_b32 s27, -1, 0
	s_cmpk_eq_i32 s1, 0x11a
	s_clause 0x1
	s_load_dwordx2 s[18:19], s[4:5], 0x50
	s_load_dword s1, s[4:5], 0x60
	s_cselect_b32 s28, -1, 0
	s_cmpk_eq_i32 s2, 0xab
	v_lshlrev_b64 v[1:2], 3, v[0:1]
	s_cselect_b32 s4, -1, 0
	s_cmpk_eq_i32 s2, 0xac
	s_cselect_b32 s2, -1, 0
	s_and_b32 s5, s25, s0
	s_and_b32 s6, s25, s28
	s_and_b32 s25, s25, s27
	s_and_b32 s29, s5, s4
	s_and_b32 s5, s5, s2
	s_and_b32 s0, s26, s0
	s_xor_b32 s58, s5, -1
	s_and_b32 s5, s25, s2
	s_and_b32 s34, s25, s4
	;; [unrolled: 1-line block ×4, first 2 shown]
	s_xor_b32 s62, s5, -1
	s_and_b32 s5, s26, s28
	s_xor_b32 s64, s0, -1
	v_cmp_gt_i32_e64 s0, s3, v0
	s_xor_b32 s63, s25, -1
	s_and_b32 s25, s5, s4
	s_and_b32 s30, s6, s4
	s_xor_b32 s65, s25, -1
	s_and_b32 s25, s26, s27
	s_and_b32 s31, s6, s2
	;; [unrolled: 1-line block ×5, first 2 shown]
	s_xor_b32 s6, s29, -1
	s_xor_b32 s59, s30, -1
	;; [unrolled: 1-line block ×6, first 2 shown]
	s_and_b32 s68, s25, s2
	s_add_i32 s69, s56, -1
	s_add_i32 s4, s56, -2
	s_cmp_gt_i32 s56, 1
	s_mov_b32 s5, 0
	s_cselect_b32 s70, -1, 0
	s_ashr_i32 s27, s3, 31
	s_add_i32 s40, s3, -2
	s_cmp_gt_i32 s3, 1
	s_waitcnt lgkmcnt(0)
	s_mul_i32 s24, s1, s24
	s_cselect_b32 s71, -1, 0
	s_lshl_b64 s[30:31], s[4:5], 2
	s_mul_i32 s1, s21, s4
	s_add_u32 s72, s8, s30
	s_addc_u32 s73, s9, s31
	s_lshl_b64 s[10:11], s[10:11], 2
	s_mul_hi_u32 s2, s20, s4
	s_add_u32 s74, s12, s30
	s_addc_u32 s75, s13, s31
	s_add_i32 s31, s2, s1
	s_mul_i32 s30, s20, s4
	s_lshl_b64 s[14:15], s[14:15], 2
	s_lshl_b64 s[30:31], s[30:31], 3
	s_mul_i32 s28, s20, s69
	s_add_u32 s1, s30, s38
	s_addc_u32 s2, s31, s39
	s_add_u32 s1, s16, s1
	s_addc_u32 s2, s17, s2
	v_add_co_u32 v14, vcc_lo, s1, v1
	s_ashr_i32 s25, s24, 31
	s_lshl_b64 s[34:35], s[20:21], 3
	v_add_co_ci_u32_e64 v15, null, s2, v2, vcc_lo
	s_lshl_b64 s[30:31], s[18:19], 3
	s_lshl_b64 s[36:37], s[24:25], 3
	s_mul_i32 s2, s21, s69
	s_mul_hi_u32 s4, s20, s69
	s_sub_u32 s25, 0, s34
	s_subb_u32 s21, 0, s35
	s_add_i32 s43, s4, s2
	s_mov_b32 s42, s28
	s_add_i32 s76, s56, 1
	s_lshl_b64 s[42:43], s[42:43], 3
	v_add_co_u32 v16, vcc_lo, v14, 4
	s_add_u32 s2, s42, s38
	s_addc_u32 s4, s43, s39
	v_add_co_ci_u32_e64 v17, null, 0, v15, vcc_lo
	v_add_co_u32 v3, vcc_lo, s23, v1
	s_add_u32 s2, s16, s2
	v_add_co_ci_u32_e64 v4, null, s57, v2, vcc_lo
	s_addc_u32 s4, s17, s4
	v_add_co_u32 v5, vcc_lo, s2, v1
	v_add_co_ci_u32_e64 v6, null, s4, v2, vcc_lo
	v_add_co_u32 v18, vcc_lo, v3, 4
	s_add_u32 s2, s38, s34
	s_addc_u32 s4, s39, s35
	v_add_co_ci_u32_e64 v19, null, 0, v4, vcc_lo
	v_add_co_u32 v20, vcc_lo, v5, 4
	s_add_u32 s2, s16, s2
	v_add_co_ci_u32_e64 v21, null, 0, v6, vcc_lo
	s_addc_u32 s4, s17, s4
	v_add_co_u32 v3, vcc_lo, s2, v1
	v_add_co_ci_u32_e64 v4, null, s4, v2, vcc_lo
	v_mad_i64_i32 v[1:2], null, s20, v0, 0
	s_mov_b32 s41, s5
	s_add_i32 s4, s3, -1
	s_lshl_b64 s[42:43], s[40:41], 2
	v_add_co_u32 v22, vcc_lo, v3, 4
	s_add_u32 s77, s8, s42
	v_lshlrev_b64 v[1:2], 3, v[1:2]
	s_addc_u32 s78, s9, s43
	v_add_co_ci_u32_e64 v23, null, 0, v4, vcc_lo
	s_add_u32 s79, s12, s42
	s_addc_u32 s80, s13, s43
	v_add_co_u32 v1, vcc_lo, v1, s38
	s_lshl_b64 s[40:41], s[40:41], 3
	v_add_co_ci_u32_e64 v2, null, s39, v2, vcc_lo
	s_add_u32 s2, s16, s40
	s_addc_u32 s26, s17, s41
	v_add_co_u32 v24, vcc_lo, s2, v1
	v_add_co_ci_u32_e64 v25, null, s26, v2, vcc_lo
	s_mul_hi_i32 s39, s20, s24
	s_mul_i32 s38, s20, s24
	v_add_co_u32 v26, vcc_lo, v24, 4
	s_lshl_b64 s[40:41], s[4:5], 3
	s_lshl_b64 s[38:39], s[38:39], 3
	s_add_i32 s5, s3, 1
	v_add_co_ci_u32_e64 v27, null, 0, v25, vcc_lo
	v_add_co_u32 v3, vcc_lo, s16, v1
	s_add_u32 s2, s16, s40
	v_add_co_ci_u32_e64 v4, null, s17, v2, vcc_lo
	s_addc_u32 s16, s17, s41
	v_add_co_u32 v1, vcc_lo, s2, v1
	v_add_co_ci_u32_e64 v2, null, s16, v2, vcc_lo
	v_add_co_u32 v28, vcc_lo, v3, 4
	v_add_co_ci_u32_e64 v29, null, 0, v4, vcc_lo
	;; [unrolled: 2-line block ×4, first 2 shown]
	v_add_co_u32 v34, vcc_lo, v3, 12
	v_cmp_gt_i32_e64 s1, s56, v0
	v_add_co_ci_u32_e64 v35, null, 0, v4, vcc_lo
	s_mul_hi_i32 s29, s20, s69
	s_mov_b32 s26, s3
	s_branch .LBB28_4
.LBB28_2:                               ;   in Loop: Header=BB28_4 Depth=1
	s_or_b32 exec_lo, exec_lo, s46
.LBB28_3:                               ;   in Loop: Header=BB28_4 Depth=1
	s_add_i32 s7, s7, s22
	s_cmp_ge_u32 s7, s33
	s_cbranch_scc1 .LBB28_108
.LBB28_4:                               ; =>This Loop Header: Depth=1
                                        ;     Child Loop BB28_19 Depth 2
                                        ;       Child Loop BB28_20 Depth 3
                                        ;     Child Loop BB28_26 Depth 2
                                        ;       Child Loop BB28_27 Depth 3
	;; [unrolled: 2-line block ×12, first 2 shown]
	s_mul_i32 s16, s15, s7
	s_mul_hi_u32 s17, s14, s7
	s_mul_i32 s2, s14, s7
	s_add_i32 s49, s17, s16
	s_mul_i32 s40, s11, s7
	s_mul_hi_u32 s41, s10, s7
	s_add_u32 s16, s12, s2
	s_mul_i32 s46, s10, s7
	s_addc_u32 s17, s13, s49
	s_add_i32 s47, s41, s40
	s_mul_i32 s42, s19, s7
	s_mul_hi_u32 s43, s18, s7
	s_add_u32 s40, s8, s46
	s_addc_u32 s41, s9, s47
	s_add_i32 s43, s43, s42
	s_mul_i32 s42, s18, s7
	s_mul_i32 s44, s31, s7
	s_mul_hi_u32 s83, s30, s7
	s_lshl_b64 s[42:43], s[42:43], 3
	s_add_i32 s83, s83, s44
	s_add_u32 s81, s23, s42
	s_mul_i32 s84, s30, s7
	s_addc_u32 s82, s57, s43
	s_and_b32 vcc_lo, exec_lo, s6
	s_mov_b32 s42, -1
	s_cbranch_vccnz .LBB28_6
; %bb.5:                                ;   in Loop: Header=BB28_4 Depth=1
	s_andn2_b32 vcc_lo, exec_lo, s42
	s_cbranch_vccnz .LBB28_3
	s_branch .LBB28_103
.LBB28_6:                               ;   in Loop: Header=BB28_4 Depth=1
	s_add_u32 s42, s77, s46
	s_addc_u32 s43, s78, s47
	s_add_u32 s44, s79, s2
	s_addc_u32 s45, s80, s49
	s_and_b32 vcc_lo, exec_lo, s58
	s_mov_b32 s48, -1
	s_cbranch_vccz .LBB28_95
; %bb.7:                                ;   in Loop: Header=BB28_4 Depth=1
	s_and_b32 vcc_lo, exec_lo, s59
	s_cbranch_vccz .LBB28_87
; %bb.8:                                ;   in Loop: Header=BB28_4 Depth=1
	s_and_b32 vcc_lo, exec_lo, s60
	;; [unrolled: 3-line block ×3, first 2 shown]
	s_cbranch_vccz .LBB28_71
; %bb.10:                               ;   in Loop: Header=BB28_4 Depth=1
	s_and_b32 vcc_lo, exec_lo, s62
	s_cbranch_vccz .LBB28_63
; %bb.11:                               ;   in Loop: Header=BB28_4 Depth=1
	v_add_co_u32 v1, vcc_lo, v18, s84
	v_add_co_ci_u32_e64 v2, null, s83, v19, vcc_lo
	s_and_b32 vcc_lo, exec_lo, s63
	s_cbranch_vccz .LBB28_55
; %bb.12:                               ;   in Loop: Header=BB28_4 Depth=1
	v_add_co_u32 v3, vcc_lo, v20, s84
	v_add_co_ci_u32_e64 v4, null, s83, v21, vcc_lo
	s_add_u32 s46, s72, s46
	s_addc_u32 s47, s73, s47
	s_add_u32 s48, s74, s2
	s_addc_u32 s49, s75, s49
	s_and_b32 vcc_lo, exec_lo, s64
	s_mov_b32 s2, -1
	s_cbranch_vccz .LBB28_46
; %bb.13:                               ;   in Loop: Header=BB28_4 Depth=1
	s_and_b32 vcc_lo, exec_lo, s65
	s_cbranch_vccz .LBB28_38
; %bb.14:                               ;   in Loop: Header=BB28_4 Depth=1
	s_and_b32 vcc_lo, exec_lo, s66
	s_cbranch_vccz .LBB28_30
; %bb.15:                               ;   in Loop: Header=BB28_4 Depth=1
	s_and_b32 vcc_lo, exec_lo, s67
	s_cbranch_vccz .LBB28_22
; %bb.16:                               ;   in Loop: Header=BB28_4 Depth=1
	s_and_saveexec_b32 s54, s68
	s_cbranch_execz .LBB28_21
; %bb.17:                               ;   in Loop: Header=BB28_4 Depth=1
	v_add_co_u32 v5, vcc_lo, v16, s84
	v_add_co_ci_u32_e64 v6, null, s83, v17, vcc_lo
	s_lshl_b64 s[50:51], s[28:29], 3
	v_mov_b32_e32 v7, v0
	s_add_u32 s55, s81, s50
	s_addc_u32 s85, s82, s51
	s_mov_b32 s86, 0
	s_branch .LBB28_19
.LBB28_18:                              ;   in Loop: Header=BB28_19 Depth=2
	v_add_nc_u32_e32 v7, s24, v7
	v_add_co_u32 v5, s2, v5, s36
	v_add_co_ci_u32_e64 v6, null, s37, v6, s2
	v_cmp_le_i32_e32 vcc_lo, s3, v7
	s_waitcnt vmcnt(0)
	global_store_dwordx2 v[8:9], v[10:11], off
	s_or_b32 s86, vcc_lo, s86
	s_andn2_b32 exec_lo, exec_lo, s86
	s_cbranch_execz .LBB28_21
.LBB28_19:                              ;   Parent Loop BB28_4 Depth=1
                                        ; =>  This Loop Header: Depth=2
                                        ;       Child Loop BB28_20 Depth 3
	v_ashrrev_i32_e32 v8, 31, v7
	v_mov_b32_e32 v13, v6
	v_mov_b32_e32 v12, v5
	s_mov_b64 s[50:51], s[48:49]
	s_mov_b64 s[52:53], s[46:47]
	v_lshlrev_b64 v[8:9], 3, v[7:8]
	s_mov_b32 s2, s69
	v_add_co_u32 v8, vcc_lo, s55, v8
	v_add_co_ci_u32_e64 v9, null, s85, v9, vcc_lo
	s_andn2_b32 vcc_lo, exec_lo, s70
	global_load_dwordx2 v[10:11], v[8:9], off
	s_cbranch_vccnz .LBB28_18
	.p2align	6
.LBB28_20:                              ;   Parent Loop BB28_4 Depth=1
                                        ;     Parent Loop BB28_19 Depth=2
                                        ; =>    This Inner Loop Header: Depth=3
	global_load_dwordx2 v[37:38], v[12:13], off offset:-4
	s_clause 0x1
	global_load_dword v41, v36, s[52:53]
	global_load_dword v42, v36, s[50:51]
	s_add_i32 s2, s2, -1
	s_add_u32 s52, s52, -4
	s_addc_u32 s53, s53, -1
	s_add_u32 s50, s50, -4
	s_addc_u32 s51, s51, -1
	s_cmp_eq_u32 s2, 0
	s_waitcnt vmcnt(1)
	v_mul_f32_e32 v39, v41, v37
	v_mul_f32_e32 v40, v41, v38
	s_waitcnt vmcnt(0)
	v_mul_f32_e32 v37, v42, v37
	v_mul_f32_e32 v38, v42, v38
	v_fmac_f32_e32 v39, v10, v42
	v_fmac_f32_e32 v40, v11, v42
	v_fma_f32 v10, v10, v41, -v37
	v_fma_f32 v11, v11, v41, -v38
	global_store_dwordx2 v[12:13], v[39:40], off offset:-4
	v_add_co_u32 v12, vcc_lo, v12, s25
	v_add_co_ci_u32_e64 v13, null, s21, v13, vcc_lo
	s_cbranch_scc0 .LBB28_20
	s_branch .LBB28_18
.LBB28_21:                              ;   in Loop: Header=BB28_4 Depth=1
	s_or_b32 exec_lo, exec_lo, s54
	s_mov_b32 s2, 0
.LBB28_22:                              ;   in Loop: Header=BB28_4 Depth=1
	s_andn2_b32 vcc_lo, exec_lo, s2
	s_cbranch_vccnz .LBB28_29
; %bb.23:                               ;   in Loop: Header=BB28_4 Depth=1
	s_and_saveexec_b32 s54, s0
	s_cbranch_execz .LBB28_28
; %bb.24:                               ;   in Loop: Header=BB28_4 Depth=1
	v_mov_b32_e32 v6, v2
	s_lshl_b64 s[50:51], s[28:29], 3
	v_mov_b32_e32 v5, v1
	v_mov_b32_e32 v7, v0
	s_add_u32 s55, s81, s50
	s_addc_u32 s85, s82, s51
	s_mov_b32 s86, 0
	s_branch .LBB28_26
.LBB28_25:                              ;   in Loop: Header=BB28_26 Depth=2
	v_add_nc_u32_e32 v7, s24, v7
	v_add_co_u32 v5, s2, v5, s36
	v_add_co_ci_u32_e64 v6, null, s37, v6, s2
	v_cmp_le_i32_e32 vcc_lo, s3, v7
	s_waitcnt vmcnt(0)
	global_store_dwordx2 v[8:9], v[10:11], off
	s_or_b32 s86, vcc_lo, s86
	s_andn2_b32 exec_lo, exec_lo, s86
	s_cbranch_execz .LBB28_28
.LBB28_26:                              ;   Parent Loop BB28_4 Depth=1
                                        ; =>  This Loop Header: Depth=2
                                        ;       Child Loop BB28_27 Depth 3
	v_ashrrev_i32_e32 v8, 31, v7
	v_mov_b32_e32 v13, v6
	v_mov_b32_e32 v12, v5
	s_mov_b64 s[50:51], s[16:17]
	s_mov_b64 s[52:53], s[40:41]
	v_lshlrev_b64 v[8:9], 3, v[7:8]
	s_mov_b32 s2, s69
	v_add_co_u32 v8, vcc_lo, s55, v8
	v_add_co_ci_u32_e64 v9, null, s85, v9, vcc_lo
	s_andn2_b32 vcc_lo, exec_lo, s70
	global_load_dwordx2 v[10:11], v[8:9], off
	s_cbranch_vccnz .LBB28_25
	.p2align	6
.LBB28_27:                              ;   Parent Loop BB28_4 Depth=1
                                        ;     Parent Loop BB28_26 Depth=2
                                        ; =>    This Inner Loop Header: Depth=3
	global_load_dwordx2 v[37:38], v[12:13], off offset:-4
	s_clause 0x1
	global_load_dword v41, v36, s[52:53]
	global_load_dword v42, v36, s[50:51]
	s_add_i32 s2, s2, -1
	s_add_u32 s52, s52, 4
	s_addc_u32 s53, s53, 0
	s_add_u32 s50, s50, 4
	s_addc_u32 s51, s51, 0
	s_cmp_eq_u32 s2, 0
	s_waitcnt vmcnt(1)
	v_mul_f32_e32 v39, v41, v37
	v_mul_f32_e32 v40, v41, v38
	s_waitcnt vmcnt(0)
	v_mul_f32_e32 v37, v42, v37
	v_mul_f32_e32 v38, v42, v38
	v_fmac_f32_e32 v39, v10, v42
	v_fmac_f32_e32 v40, v11, v42
	v_fma_f32 v10, v10, v41, -v37
	v_fma_f32 v11, v11, v41, -v38
	global_store_dwordx2 v[12:13], v[39:40], off offset:-4
	v_add_co_u32 v12, vcc_lo, v12, s34
	v_add_co_ci_u32_e64 v13, null, s35, v13, vcc_lo
	s_cbranch_scc0 .LBB28_27
	s_branch .LBB28_25
.LBB28_28:                              ;   in Loop: Header=BB28_4 Depth=1
	s_or_b32 exec_lo, exec_lo, s54
.LBB28_29:                              ;   in Loop: Header=BB28_4 Depth=1
	s_mov_b32 s2, 0
.LBB28_30:                              ;   in Loop: Header=BB28_4 Depth=1
	s_andn2_b32 vcc_lo, exec_lo, s2
	s_cbranch_vccnz .LBB28_37
; %bb.31:                               ;   in Loop: Header=BB28_4 Depth=1
	s_and_saveexec_b32 s54, s0
	s_cbranch_execz .LBB28_36
; %bb.32:                               ;   in Loop: Header=BB28_4 Depth=1
	v_mov_b32_e32 v6, v4
	v_mov_b32_e32 v5, v3
	;; [unrolled: 1-line block ×3, first 2 shown]
	s_mov_b32 s55, 0
	s_branch .LBB28_34
.LBB28_33:                              ;   in Loop: Header=BB28_34 Depth=2
	v_add_nc_u32_e32 v7, s24, v7
	v_add_co_u32 v5, s2, v5, s36
	v_add_co_ci_u32_e64 v6, null, s37, v6, s2
	v_cmp_le_i32_e32 vcc_lo, s3, v7
	s_waitcnt vmcnt(0)
	global_store_dwordx2 v[8:9], v[10:11], off
	s_or_b32 s55, vcc_lo, s55
	s_andn2_b32 exec_lo, exec_lo, s55
	s_cbranch_execz .LBB28_36
.LBB28_34:                              ;   Parent Loop BB28_4 Depth=1
                                        ; =>  This Loop Header: Depth=2
                                        ;       Child Loop BB28_35 Depth 3
	v_ashrrev_i32_e32 v8, 31, v7
	v_mov_b32_e32 v13, v6
	v_mov_b32_e32 v12, v5
	s_mov_b64 s[50:51], s[48:49]
	s_mov_b64 s[52:53], s[46:47]
	v_lshlrev_b64 v[8:9], 3, v[7:8]
	s_mov_b32 s2, s76
	v_add_co_u32 v8, vcc_lo, s81, v8
	v_add_co_ci_u32_e64 v9, null, s82, v9, vcc_lo
	s_andn2_b32 vcc_lo, exec_lo, s70
	global_load_dwordx2 v[10:11], v[8:9], off
	s_cbranch_vccnz .LBB28_33
	.p2align	6
.LBB28_35:                              ;   Parent Loop BB28_4 Depth=1
                                        ;     Parent Loop BB28_34 Depth=2
                                        ; =>    This Inner Loop Header: Depth=3
	s_clause 0x1
	global_load_dword v39, v36, s[50:51]
	global_load_dword v40, v36, s[52:53]
	global_load_dwordx2 v[37:38], v[12:13], off offset:-4
	s_waitcnt vmcnt(3)
	v_mov_b32_e32 v41, v11
	v_mov_b32_e32 v42, v10
	s_add_i32 s2, s2, -1
	s_add_u32 s52, s52, -4
	s_addc_u32 s53, s53, -1
	s_add_u32 s50, s50, -4
	s_addc_u32 s51, s51, -1
	s_cmp_lt_u32 s2, 3
	s_waitcnt vmcnt(2)
	v_mul_f32_e32 v43, v42, v39
	v_mul_f32_e32 v44, v41, v39
	s_waitcnt vmcnt(0)
	v_mul_f32_e32 v10, v39, v37
	v_mul_f32_e32 v11, v39, v38
	v_fma_f32 v37, v40, v37, -v43
	v_fma_f32 v38, v40, v38, -v44
	v_fmac_f32_e32 v10, v42, v40
	v_fmac_f32_e32 v11, v41, v40
	global_store_dwordx2 v[12:13], v[37:38], off offset:-4
	v_add_co_u32 v12, vcc_lo, v12, s25
	v_add_co_ci_u32_e64 v13, null, s21, v13, vcc_lo
	s_cbranch_scc0 .LBB28_35
	s_branch .LBB28_33
.LBB28_36:                              ;   in Loop: Header=BB28_4 Depth=1
	s_or_b32 exec_lo, exec_lo, s54
.LBB28_37:                              ;   in Loop: Header=BB28_4 Depth=1
	s_mov_b32 s2, 0
.LBB28_38:                              ;   in Loop: Header=BB28_4 Depth=1
	s_andn2_b32 vcc_lo, exec_lo, s2
	s_cbranch_vccnz .LBB28_45
; %bb.39:                               ;   in Loop: Header=BB28_4 Depth=1
	s_and_saveexec_b32 s54, s0
	s_cbranch_execz .LBB28_44
; %bb.40:                               ;   in Loop: Header=BB28_4 Depth=1
	v_add_co_u32 v5, vcc_lo, v22, s84
	v_add_co_ci_u32_e64 v6, null, s83, v23, vcc_lo
	v_mov_b32_e32 v7, v0
	s_mov_b32 s55, 0
	s_branch .LBB28_42
.LBB28_41:                              ;   in Loop: Header=BB28_42 Depth=2
	v_add_nc_u32_e32 v7, s24, v7
	v_add_co_u32 v5, s2, v5, s36
	v_add_co_ci_u32_e64 v6, null, s37, v6, s2
	v_cmp_le_i32_e32 vcc_lo, s3, v7
	s_waitcnt vmcnt(0)
	global_store_dwordx2 v[8:9], v[10:11], off
	s_or_b32 s55, vcc_lo, s55
	s_andn2_b32 exec_lo, exec_lo, s55
	s_cbranch_execz .LBB28_44
.LBB28_42:                              ;   Parent Loop BB28_4 Depth=1
                                        ; =>  This Loop Header: Depth=2
                                        ;       Child Loop BB28_43 Depth 3
	v_ashrrev_i32_e32 v8, 31, v7
	v_mov_b32_e32 v13, v6
	v_mov_b32_e32 v12, v5
	s_mov_b32 s2, s69
	s_mov_b64 s[50:51], s[40:41]
	v_lshlrev_b64 v[8:9], 3, v[7:8]
	s_mov_b64 s[52:53], s[16:17]
	v_add_co_u32 v8, vcc_lo, s81, v8
	v_add_co_ci_u32_e64 v9, null, s82, v9, vcc_lo
	s_andn2_b32 vcc_lo, exec_lo, s70
	global_load_dwordx2 v[10:11], v[8:9], off
	s_cbranch_vccnz .LBB28_41
	.p2align	6
.LBB28_43:                              ;   Parent Loop BB28_4 Depth=1
                                        ;     Parent Loop BB28_42 Depth=2
                                        ; =>    This Inner Loop Header: Depth=3
	s_clause 0x1
	global_load_dword v39, v36, s[52:53]
	global_load_dword v40, v36, s[50:51]
	global_load_dwordx2 v[37:38], v[12:13], off offset:-4
	s_waitcnt vmcnt(3)
	v_mov_b32_e32 v41, v11
	v_mov_b32_e32 v42, v10
	s_add_u32 s52, s52, 4
	s_addc_u32 s53, s53, 0
	s_add_u32 s50, s50, 4
	s_addc_u32 s51, s51, 0
	s_add_i32 s2, s2, -1
	s_cmp_eq_u32 s2, 0
	s_waitcnt vmcnt(2)
	v_mul_f32_e32 v43, v42, v39
	v_mul_f32_e32 v44, v41, v39
	s_waitcnt vmcnt(0)
	v_mul_f32_e32 v10, v39, v37
	v_mul_f32_e32 v11, v39, v38
	v_fma_f32 v37, v40, v37, -v43
	v_fma_f32 v38, v40, v38, -v44
	v_fmac_f32_e32 v10, v42, v40
	v_fmac_f32_e32 v11, v41, v40
	global_store_dwordx2 v[12:13], v[37:38], off offset:-4
	v_add_co_u32 v12, vcc_lo, v12, s34
	v_add_co_ci_u32_e64 v13, null, s35, v13, vcc_lo
	s_cbranch_scc0 .LBB28_43
	s_branch .LBB28_41
.LBB28_44:                              ;   in Loop: Header=BB28_4 Depth=1
	s_or_b32 exec_lo, exec_lo, s54
.LBB28_45:                              ;   in Loop: Header=BB28_4 Depth=1
	s_mov_b32 s2, 0
.LBB28_46:                              ;   in Loop: Header=BB28_4 Depth=1
	s_andn2_b32 vcc_lo, exec_lo, s2
	s_cbranch_vccnz .LBB28_54
; %bb.47:                               ;   in Loop: Header=BB28_4 Depth=1
	s_and_saveexec_b32 s85, s0
	s_cbranch_execz .LBB28_53
; %bb.48:                               ;   in Loop: Header=BB28_4 Depth=1
	v_add_co_u32 v10, vcc_lo, v14, s84
	v_add_co_ci_u32_e64 v11, null, s83, v15, vcc_lo
	s_lshl_b64 s[50:51], s[28:29], 3
	v_mov_b32_e32 v5, v0
	s_add_u32 s86, s81, s50
	s_addc_u32 s87, s82, s51
	s_mov_b32 s88, 0
	s_branch .LBB28_50
.LBB28_49:                              ;   in Loop: Header=BB28_50 Depth=2
	s_inst_prefetch 0x2
	v_add_nc_u32_e32 v5, s24, v5
	v_add_co_u32 v6, vcc_lo, s81, v6
	v_add_co_ci_u32_e64 v7, null, s82, v7, vcc_lo
	v_add_co_u32 v10, vcc_lo, v10, s36
	v_add_co_ci_u32_e64 v11, null, s37, v11, vcc_lo
	v_cmp_le_i32_e32 vcc_lo, s3, v5
	v_add_co_u32 v3, s2, v3, s36
	v_add_co_ci_u32_e64 v4, null, s37, v4, s2
	s_or_b32 s88, vcc_lo, s88
	s_waitcnt vmcnt(0)
	global_store_dwordx2 v[6:7], v[8:9], off
	s_andn2_b32 exec_lo, exec_lo, s88
	s_cbranch_execz .LBB28_53
.LBB28_50:                              ;   Parent Loop BB28_4 Depth=1
                                        ; =>  This Loop Header: Depth=2
                                        ;       Child Loop BB28_52 Depth 3
	v_ashrrev_i32_e32 v6, 31, v5
	v_lshlrev_b64 v[6:7], 3, v[5:6]
	v_add_co_u32 v8, vcc_lo, s86, v6
	v_add_co_ci_u32_e64 v9, null, s87, v7, vcc_lo
	s_andn2_b32 vcc_lo, exec_lo, s70
	global_load_dwordx2 v[8:9], v[8:9], off
	s_cbranch_vccnz .LBB28_49
; %bb.51:                               ;   in Loop: Header=BB28_50 Depth=2
	s_mov_b64 s[50:51], 0
	s_mov_b64 s[52:53], s[48:49]
	;; [unrolled: 1-line block ×3, first 2 shown]
	s_mov_b32 s2, s69
	s_inst_prefetch 0x1
	.p2align	6
.LBB28_52:                              ;   Parent Loop BB28_4 Depth=1
                                        ;     Parent Loop BB28_50 Depth=2
                                        ; =>    This Inner Loop Header: Depth=3
	v_add_co_u32 v12, vcc_lo, v10, s50
	v_add_co_ci_u32_e64 v13, null, s51, v11, vcc_lo
	s_waitcnt vmcnt(0)
	v_mov_b32_e32 v41, v9
	s_clause 0x1
	global_load_dword v39, v36, s[54:55]
	global_load_dword v40, v36, s[52:53]
	global_load_dwordx2 v[12:13], v[12:13], off
	v_mov_b32_e32 v42, v8
	v_add_co_u32 v37, vcc_lo, v3, s50
	s_add_i32 s2, s2, -1
	s_sub_u32 s50, s50, s34
	v_add_co_ci_u32_e64 v38, null, s51, v4, vcc_lo
	s_subb_u32 s51, s51, s35
	s_add_u32 s54, s54, -4
	s_addc_u32 s55, s55, -1
	s_add_u32 s52, s52, -4
	s_addc_u32 s53, s53, -1
	s_cmp_eq_u32 s2, 0
	s_waitcnt vmcnt(0)
	v_mul_f32_e32 v43, v40, v12
	v_mul_f32_e32 v44, v40, v13
	;; [unrolled: 1-line block ×4, first 2 shown]
	v_fma_f32 v12, v42, v39, -v43
	v_fma_f32 v13, v41, v39, -v44
	v_fmac_f32_e32 v8, v42, v40
	v_fmac_f32_e32 v9, v41, v40
	global_store_dwordx2 v[37:38], v[12:13], off offset:-4
	s_cbranch_scc0 .LBB28_52
	s_branch .LBB28_49
.LBB28_53:                              ;   in Loop: Header=BB28_4 Depth=1
	s_or_b32 exec_lo, exec_lo, s85
.LBB28_54:                              ;   in Loop: Header=BB28_4 Depth=1
	s_mov_b32 s48, 0
.LBB28_55:                              ;   in Loop: Header=BB28_4 Depth=1
	s_andn2_b32 vcc_lo, exec_lo, s48
	s_cbranch_vccnz .LBB28_62
; %bb.56:                               ;   in Loop: Header=BB28_4 Depth=1
	s_and_saveexec_b32 s50, s0
	s_cbranch_execz .LBB28_61
; %bb.57:                               ;   in Loop: Header=BB28_4 Depth=1
	s_lshl_b64 s[46:47], s[28:29], 3
	v_mov_b32_e32 v3, v0
	s_add_u32 s51, s81, s46
	s_addc_u32 s52, s82, s47
	s_mov_b32 s53, 0
	s_branch .LBB28_59
.LBB28_58:                              ;   in Loop: Header=BB28_59 Depth=2
	v_add_nc_u32_e32 v3, s24, v3
	v_add_co_u32 v4, vcc_lo, s51, v4
	v_add_co_ci_u32_e64 v5, null, s52, v5, vcc_lo
	v_cmp_le_i32_e32 vcc_lo, s3, v3
	v_add_co_u32 v1, s2, v1, s36
	v_add_co_ci_u32_e64 v2, null, s37, v2, s2
	s_or_b32 s53, vcc_lo, s53
	s_waitcnt vmcnt(0)
	global_store_dwordx2 v[4:5], v[6:7], off
	s_andn2_b32 exec_lo, exec_lo, s53
	s_cbranch_execz .LBB28_61
.LBB28_59:                              ;   Parent Loop BB28_4 Depth=1
                                        ; =>  This Loop Header: Depth=2
                                        ;       Child Loop BB28_60 Depth 3
	v_ashrrev_i32_e32 v4, 31, v3
	v_mov_b32_e32 v9, v2
	v_mov_b32_e32 v8, v1
	s_mov_b64 s[46:47], s[16:17]
	s_mov_b64 s[48:49], s[40:41]
	v_lshlrev_b64 v[4:5], 3, v[3:4]
	s_mov_b32 s2, s69
	v_add_co_u32 v6, vcc_lo, s81, v4
	v_add_co_ci_u32_e64 v7, null, s82, v5, vcc_lo
	s_andn2_b32 vcc_lo, exec_lo, s70
	global_load_dwordx2 v[6:7], v[6:7], off
	s_cbranch_vccnz .LBB28_58
	.p2align	6
.LBB28_60:                              ;   Parent Loop BB28_4 Depth=1
                                        ;     Parent Loop BB28_59 Depth=2
                                        ; =>    This Inner Loop Header: Depth=3
	v_add_co_u32 v10, vcc_lo, v8, s34
	v_add_co_ci_u32_e64 v11, null, s35, v9, vcc_lo
	s_add_i32 s2, s2, -1
	global_load_dwordx2 v[12:13], v[10:11], off offset:-4
	s_clause 0x1
	global_load_dword v39, v36, s[46:47]
	global_load_dword v40, v36, s[48:49]
	s_add_u32 s48, s48, 4
	s_addc_u32 s49, s49, 0
	s_add_u32 s46, s46, 4
	s_addc_u32 s47, s47, 0
	s_cmp_eq_u32 s2, 0
	s_waitcnt vmcnt(1)
	v_mul_f32_e32 v37, v39, v12
	v_mul_f32_e32 v38, v39, v13
	;; [unrolled: 1-line block ×4, first 2 shown]
	s_waitcnt vmcnt(0)
	v_fmac_f32_e32 v37, v6, v40
	v_fmac_f32_e32 v38, v7, v40
	v_fma_f32 v6, v40, v12, -v41
	v_fma_f32 v7, v40, v13, -v39
	global_store_dwordx2 v[8:9], v[37:38], off offset:-4
	v_mov_b32_e32 v8, v10
	v_mov_b32_e32 v9, v11
	s_cbranch_scc0 .LBB28_60
	s_branch .LBB28_58
.LBB28_61:                              ;   in Loop: Header=BB28_4 Depth=1
	s_or_b32 exec_lo, exec_lo, s50
.LBB28_62:                              ;   in Loop: Header=BB28_4 Depth=1
	s_mov_b32 s48, 0
.LBB28_63:                              ;   in Loop: Header=BB28_4 Depth=1
	s_andn2_b32 vcc_lo, exec_lo, s48
	s_cbranch_vccnz .LBB28_70
; %bb.64:                               ;   in Loop: Header=BB28_4 Depth=1
	s_and_saveexec_b32 s50, s1
	s_cbranch_execz .LBB28_69
; %bb.65:                               ;   in Loop: Header=BB28_4 Depth=1
	v_add_co_u32 v1, vcc_lo, v26, s84
	v_add_co_ci_u32_e64 v2, null, s83, v27, vcc_lo
	s_lshl_b64 s[46:47], s[26:27], 3
	v_mov_b32_e32 v9, v0
	s_add_u32 s51, s81, s46
	s_addc_u32 s52, s82, s47
	s_mov_b32 s53, 0
	s_branch .LBB28_67
.LBB28_66:                              ;   in Loop: Header=BB28_67 Depth=2
	v_add_nc_u32_e32 v9, s24, v9
	v_add_co_u32 v1, s2, v1, s38
	v_add_co_ci_u32_e64 v2, null, s39, v2, s2
	v_cmp_le_i32_e32 vcc_lo, s56, v9
	s_waitcnt vmcnt(0)
	global_store_dwordx2 v[3:4], v[5:6], off offset:-8
	s_or_b32 s53, vcc_lo, s53
	s_andn2_b32 exec_lo, exec_lo, s53
	s_cbranch_execz .LBB28_69
.LBB28_67:                              ;   Parent Loop BB28_4 Depth=1
                                        ; =>  This Loop Header: Depth=2
                                        ;       Child Loop BB28_68 Depth 3
	v_mad_i64_i32 v[3:4], null, v9, s20, 0
	v_mov_b32_e32 v8, v2
	v_mov_b32_e32 v7, v1
	s_mov_b64 s[46:47], s[44:45]
	s_mov_b64 s[48:49], s[42:43]
	s_mov_b32 s2, s4
	v_lshlrev_b64 v[3:4], 3, v[3:4]
	v_add_co_u32 v3, vcc_lo, s51, v3
	v_add_co_ci_u32_e64 v4, null, s52, v4, vcc_lo
	s_andn2_b32 vcc_lo, exec_lo, s71
	global_load_dwordx2 v[5:6], v[3:4], off offset:-8
	s_cbranch_vccnz .LBB28_66
	.p2align	6
.LBB28_68:                              ;   Parent Loop BB28_4 Depth=1
                                        ;     Parent Loop BB28_67 Depth=2
                                        ; =>    This Inner Loop Header: Depth=3
	global_load_dwordx2 v[10:11], v[7:8], off offset:-4
	s_clause 0x1
	global_load_dword v37, v36, s[48:49]
	global_load_dword v38, v36, s[46:47]
	s_add_i32 s2, s2, -1
	s_add_u32 s48, s48, -4
	s_addc_u32 s49, s49, -1
	s_add_u32 s46, s46, -4
	s_addc_u32 s47, s47, -1
	s_cmp_eq_u32 s2, 0
	s_waitcnt vmcnt(1)
	v_mul_f32_e32 v12, v37, v10
	v_mul_f32_e32 v13, v37, v11
	s_waitcnt vmcnt(0)
	v_mul_f32_e32 v10, v38, v10
	v_mul_f32_e32 v11, v38, v11
	v_fmac_f32_e32 v12, v5, v38
	v_fmac_f32_e32 v13, v6, v38
	v_fma_f32 v5, v5, v37, -v10
	v_fma_f32 v6, v6, v37, -v11
	global_store_dwordx2 v[7:8], v[12:13], off offset:-4
	v_add_co_u32 v7, vcc_lo, v7, -8
	v_add_co_ci_u32_e64 v8, null, -1, v8, vcc_lo
	s_cbranch_scc0 .LBB28_68
	s_branch .LBB28_66
.LBB28_69:                              ;   in Loop: Header=BB28_4 Depth=1
	s_or_b32 exec_lo, exec_lo, s50
.LBB28_70:                              ;   in Loop: Header=BB28_4 Depth=1
	s_mov_b32 s48, 0
.LBB28_71:                              ;   in Loop: Header=BB28_4 Depth=1
	s_andn2_b32 vcc_lo, exec_lo, s48
	s_cbranch_vccnz .LBB28_78
; %bb.72:                               ;   in Loop: Header=BB28_4 Depth=1
	s_and_saveexec_b32 s50, s1
	s_cbranch_execz .LBB28_77
; %bb.73:                               ;   in Loop: Header=BB28_4 Depth=1
	v_add_co_u32 v1, vcc_lo, v28, s84
	v_add_co_ci_u32_e64 v2, null, s83, v29, vcc_lo
	s_lshl_b64 s[46:47], s[26:27], 3
	v_mov_b32_e32 v9, v0
	s_add_u32 s51, s81, s46
	s_addc_u32 s52, s82, s47
	s_mov_b32 s53, 0
	s_branch .LBB28_75
.LBB28_74:                              ;   in Loop: Header=BB28_75 Depth=2
	v_add_nc_u32_e32 v9, s24, v9
	v_add_co_u32 v1, s2, v1, s38
	v_add_co_ci_u32_e64 v2, null, s39, v2, s2
	v_cmp_le_i32_e32 vcc_lo, s56, v9
	s_waitcnt vmcnt(0)
	global_store_dwordx2 v[3:4], v[5:6], off offset:-8
	s_or_b32 s53, vcc_lo, s53
	s_andn2_b32 exec_lo, exec_lo, s53
	s_cbranch_execz .LBB28_77
.LBB28_75:                              ;   Parent Loop BB28_4 Depth=1
                                        ; =>  This Loop Header: Depth=2
                                        ;       Child Loop BB28_76 Depth 3
	v_mad_i64_i32 v[3:4], null, v9, s20, 0
	v_mov_b32_e32 v8, v2
	v_mov_b32_e32 v7, v1
	s_mov_b64 s[46:47], s[16:17]
	s_mov_b64 s[48:49], s[40:41]
	s_mov_b32 s2, s4
	v_lshlrev_b64 v[3:4], 3, v[3:4]
	v_add_co_u32 v3, vcc_lo, s51, v3
	v_add_co_ci_u32_e64 v4, null, s52, v4, vcc_lo
	s_andn2_b32 vcc_lo, exec_lo, s71
	global_load_dwordx2 v[5:6], v[3:4], off offset:-8
	s_cbranch_vccnz .LBB28_74
	.p2align	6
.LBB28_76:                              ;   Parent Loop BB28_4 Depth=1
                                        ;     Parent Loop BB28_75 Depth=2
                                        ; =>    This Inner Loop Header: Depth=3
	global_load_dwordx2 v[10:11], v[7:8], off offset:-4
	s_clause 0x1
	global_load_dword v37, v36, s[48:49]
	global_load_dword v38, v36, s[46:47]
	s_add_i32 s2, s2, -1
	s_add_u32 s48, s48, 4
	s_addc_u32 s49, s49, 0
	s_add_u32 s46, s46, 4
	s_addc_u32 s47, s47, 0
	s_cmp_eq_u32 s2, 0
	s_waitcnt vmcnt(1)
	v_mul_f32_e32 v12, v37, v10
	v_mul_f32_e32 v13, v37, v11
	s_waitcnt vmcnt(0)
	v_mul_f32_e32 v10, v38, v10
	v_mul_f32_e32 v11, v38, v11
	v_fmac_f32_e32 v12, v5, v38
	v_fmac_f32_e32 v13, v6, v38
	v_fma_f32 v5, v5, v37, -v10
	v_fma_f32 v6, v6, v37, -v11
	global_store_dwordx2 v[7:8], v[12:13], off offset:-4
	v_add_co_u32 v7, vcc_lo, v7, 8
	v_add_co_ci_u32_e64 v8, null, 0, v8, vcc_lo
	s_cbranch_scc0 .LBB28_76
	s_branch .LBB28_74
.LBB28_77:                              ;   in Loop: Header=BB28_4 Depth=1
	s_or_b32 exec_lo, exec_lo, s50
.LBB28_78:                              ;   in Loop: Header=BB28_4 Depth=1
	s_mov_b32 s48, 0
.LBB28_79:                              ;   in Loop: Header=BB28_4 Depth=1
	s_andn2_b32 vcc_lo, exec_lo, s48
	s_cbranch_vccnz .LBB28_86
; %bb.80:                               ;   in Loop: Header=BB28_4 Depth=1
	s_and_saveexec_b32 s50, s1
	s_cbranch_execz .LBB28_85
; %bb.81:                               ;   in Loop: Header=BB28_4 Depth=1
	v_add_co_u32 v1, vcc_lo, v30, s84
	v_add_co_ci_u32_e64 v2, null, s83, v31, vcc_lo
	v_mov_b32_e32 v9, v0
	s_mov_b32 s51, 0
	s_branch .LBB28_83
.LBB28_82:                              ;   in Loop: Header=BB28_83 Depth=2
	v_add_nc_u32_e32 v9, s24, v9
	v_add_co_u32 v1, s2, v1, s38
	v_add_co_ci_u32_e64 v2, null, s39, v2, s2
	v_cmp_le_i32_e32 vcc_lo, s56, v9
	s_waitcnt vmcnt(0)
	global_store_dwordx2 v[3:4], v[5:6], off
	s_or_b32 s51, vcc_lo, s51
	s_andn2_b32 exec_lo, exec_lo, s51
	s_cbranch_execz .LBB28_85
.LBB28_83:                              ;   Parent Loop BB28_4 Depth=1
                                        ; =>  This Loop Header: Depth=2
                                        ;       Child Loop BB28_84 Depth 3
	v_mad_i64_i32 v[3:4], null, v9, s20, 0
	v_mov_b32_e32 v8, v2
	v_mov_b32_e32 v7, v1
	s_mov_b64 s[46:47], s[44:45]
	s_mov_b64 s[48:49], s[42:43]
	s_mov_b32 s2, s5
	v_lshlrev_b64 v[3:4], 3, v[3:4]
	v_add_co_u32 v3, vcc_lo, s81, v3
	v_add_co_ci_u32_e64 v4, null, s82, v4, vcc_lo
	s_andn2_b32 vcc_lo, exec_lo, s71
	global_load_dwordx2 v[5:6], v[3:4], off
	s_cbranch_vccnz .LBB28_82
	.p2align	6
.LBB28_84:                              ;   Parent Loop BB28_4 Depth=1
                                        ;     Parent Loop BB28_83 Depth=2
                                        ; =>    This Inner Loop Header: Depth=3
	s_clause 0x1
	global_load_dword v12, v36, s[46:47]
	global_load_dword v13, v36, s[48:49]
	global_load_dwordx2 v[10:11], v[7:8], off offset:-4
	s_waitcnt vmcnt(3)
	v_mov_b32_e32 v37, v6
	v_mov_b32_e32 v38, v5
	s_add_i32 s2, s2, -1
	s_add_u32 s48, s48, -4
	s_addc_u32 s49, s49, -1
	s_add_u32 s46, s46, -4
	s_addc_u32 s47, s47, -1
	s_cmp_lt_u32 s2, 3
	s_waitcnt vmcnt(2)
	v_mul_f32_e32 v39, v38, v12
	v_mul_f32_e32 v40, v37, v12
	s_waitcnt vmcnt(0)
	v_mul_f32_e32 v5, v12, v10
	v_mul_f32_e32 v6, v12, v11
	v_fma_f32 v10, v13, v10, -v39
	v_fma_f32 v11, v13, v11, -v40
	v_fmac_f32_e32 v5, v38, v13
	v_fmac_f32_e32 v6, v37, v13
	global_store_dwordx2 v[7:8], v[10:11], off offset:-4
	v_add_co_u32 v7, vcc_lo, v7, -8
	v_add_co_ci_u32_e64 v8, null, -1, v8, vcc_lo
	s_cbranch_scc0 .LBB28_84
	s_branch .LBB28_82
.LBB28_85:                              ;   in Loop: Header=BB28_4 Depth=1
	s_or_b32 exec_lo, exec_lo, s50
.LBB28_86:                              ;   in Loop: Header=BB28_4 Depth=1
	s_mov_b32 s48, 0
.LBB28_87:                              ;   in Loop: Header=BB28_4 Depth=1
	s_andn2_b32 vcc_lo, exec_lo, s48
	s_cbranch_vccnz .LBB28_94
; %bb.88:                               ;   in Loop: Header=BB28_4 Depth=1
	s_and_saveexec_b32 s50, s1
	s_cbranch_execz .LBB28_93
; %bb.89:                               ;   in Loop: Header=BB28_4 Depth=1
	v_add_co_u32 v1, vcc_lo, v32, s84
	v_add_co_ci_u32_e64 v2, null, s83, v33, vcc_lo
	v_mov_b32_e32 v9, v0
	s_mov_b32 s51, 0
	s_branch .LBB28_91
.LBB28_90:                              ;   in Loop: Header=BB28_91 Depth=2
	v_add_nc_u32_e32 v9, s24, v9
	v_add_co_u32 v1, s2, v1, s38
	v_add_co_ci_u32_e64 v2, null, s39, v2, s2
	v_cmp_le_i32_e32 vcc_lo, s56, v9
	s_waitcnt vmcnt(0)
	global_store_dwordx2 v[3:4], v[5:6], off
	s_or_b32 s51, vcc_lo, s51
	s_andn2_b32 exec_lo, exec_lo, s51
	s_cbranch_execz .LBB28_93
.LBB28_91:                              ;   Parent Loop BB28_4 Depth=1
                                        ; =>  This Loop Header: Depth=2
                                        ;       Child Loop BB28_92 Depth 3
	v_mad_i64_i32 v[3:4], null, v9, s20, 0
	v_mov_b32_e32 v8, v2
	v_mov_b32_e32 v7, v1
	s_mov_b32 s2, s4
	s_mov_b64 s[46:47], s[40:41]
	s_mov_b64 s[48:49], s[16:17]
	v_lshlrev_b64 v[3:4], 3, v[3:4]
	v_add_co_u32 v3, vcc_lo, s81, v3
	v_add_co_ci_u32_e64 v4, null, s82, v4, vcc_lo
	s_andn2_b32 vcc_lo, exec_lo, s71
	global_load_dwordx2 v[5:6], v[3:4], off
	s_cbranch_vccnz .LBB28_90
	.p2align	6
.LBB28_92:                              ;   Parent Loop BB28_4 Depth=1
                                        ;     Parent Loop BB28_91 Depth=2
                                        ; =>    This Inner Loop Header: Depth=3
	s_clause 0x1
	global_load_dword v12, v36, s[48:49]
	global_load_dword v13, v36, s[46:47]
	global_load_dwordx2 v[10:11], v[7:8], off
	s_waitcnt vmcnt(3)
	v_mov_b32_e32 v37, v6
	v_mov_b32_e32 v38, v5
	s_add_u32 s48, s48, 4
	s_addc_u32 s49, s49, 0
	s_add_u32 s46, s46, 4
	s_addc_u32 s47, s47, 0
	s_add_i32 s2, s2, -1
	s_cmp_eq_u32 s2, 0
	s_waitcnt vmcnt(2)
	v_mul_f32_e32 v39, v38, v12
	v_mul_f32_e32 v40, v37, v12
	s_waitcnt vmcnt(0)
	v_mul_f32_e32 v5, v12, v10
	v_mul_f32_e32 v6, v12, v11
	v_fma_f32 v10, v13, v10, -v39
	v_fma_f32 v11, v13, v11, -v40
	v_fmac_f32_e32 v5, v38, v13
	v_fmac_f32_e32 v6, v37, v13
	global_store_dwordx2 v[7:8], v[10:11], off
	v_add_co_u32 v7, vcc_lo, v7, 8
	v_add_co_ci_u32_e64 v8, null, 0, v8, vcc_lo
	s_cbranch_scc0 .LBB28_92
	s_branch .LBB28_90
.LBB28_93:                              ;   in Loop: Header=BB28_4 Depth=1
	s_or_b32 exec_lo, exec_lo, s50
.LBB28_94:                              ;   in Loop: Header=BB28_4 Depth=1
	s_mov_b32 s48, 0
.LBB28_95:                              ;   in Loop: Header=BB28_4 Depth=1
	s_andn2_b32 vcc_lo, exec_lo, s48
	s_cbranch_vccnz .LBB28_102
; %bb.96:                               ;   in Loop: Header=BB28_4 Depth=1
	s_and_saveexec_b32 s50, s1
	s_cbranch_execz .LBB28_101
; %bb.97:                               ;   in Loop: Header=BB28_4 Depth=1
	v_add_co_u32 v1, vcc_lo, v24, s84
	v_add_co_ci_u32_e64 v2, null, s83, v25, vcc_lo
	s_lshl_b64 s[46:47], s[26:27], 3
	v_mov_b32_e32 v9, v0
	s_add_u32 s51, s81, s46
	s_addc_u32 s52, s82, s47
	s_mov_b32 s53, 0
	s_branch .LBB28_99
.LBB28_98:                              ;   in Loop: Header=BB28_99 Depth=2
	v_add_nc_u32_e32 v9, s24, v9
	v_add_co_u32 v3, vcc_lo, s81, v3
	v_add_co_ci_u32_e64 v4, null, s82, v4, vcc_lo
	v_cmp_le_i32_e32 vcc_lo, s56, v9
	v_add_co_u32 v1, s2, v1, s38
	v_add_co_ci_u32_e64 v2, null, s39, v2, s2
	s_or_b32 s53, vcc_lo, s53
	s_waitcnt vmcnt(0)
	global_store_dwordx2 v[3:4], v[5:6], off
	s_andn2_b32 exec_lo, exec_lo, s53
	s_cbranch_execz .LBB28_101
.LBB28_99:                              ;   Parent Loop BB28_4 Depth=1
                                        ; =>  This Loop Header: Depth=2
                                        ;       Child Loop BB28_100 Depth 3
	v_mad_i64_i32 v[3:4], null, v9, s20, 0
	v_mov_b32_e32 v8, v2
	v_mov_b32_e32 v7, v1
	s_mov_b64 s[46:47], s[44:45]
	s_mov_b64 s[48:49], s[42:43]
	s_mov_b32 s2, s4
	v_lshlrev_b64 v[3:4], 3, v[3:4]
	v_add_co_u32 v5, vcc_lo, s51, v3
	v_add_co_ci_u32_e64 v6, null, s52, v4, vcc_lo
	s_andn2_b32 vcc_lo, exec_lo, s71
	global_load_dwordx2 v[5:6], v[5:6], off offset:-8
	s_cbranch_vccnz .LBB28_98
	.p2align	6
.LBB28_100:                             ;   Parent Loop BB28_4 Depth=1
                                        ;     Parent Loop BB28_99 Depth=2
                                        ; =>    This Inner Loop Header: Depth=3
	global_load_dwordx2 v[10:11], v[7:8], off
	s_clause 0x1
	global_load_dword v12, v36, s[46:47]
	global_load_dword v13, v36, s[48:49]
	s_waitcnt vmcnt(3)
	v_mov_b32_e32 v37, v6
	v_mov_b32_e32 v38, v5
	s_add_i32 s2, s2, -1
	s_add_u32 s48, s48, -4
	s_addc_u32 s49, s49, -1
	s_add_u32 s46, s46, -4
	s_addc_u32 s47, s47, -1
	s_cmp_eq_u32 s2, 0
	s_waitcnt vmcnt(1)
	v_mul_f32_e32 v39, v12, v10
	v_mul_f32_e32 v40, v12, v11
	s_waitcnt vmcnt(0)
	v_mul_f32_e32 v5, v13, v10
	v_mul_f32_e32 v6, v13, v11
	v_fma_f32 v10, v38, v13, -v39
	v_fma_f32 v11, v37, v13, -v40
	v_fmac_f32_e32 v5, v38, v12
	v_fmac_f32_e32 v6, v37, v12
	global_store_dwordx2 v[7:8], v[10:11], off offset:8
	v_add_co_u32 v7, vcc_lo, v7, -8
	v_add_co_ci_u32_e64 v8, null, -1, v8, vcc_lo
	s_cbranch_scc0 .LBB28_100
	s_branch .LBB28_98
.LBB28_101:                             ;   in Loop: Header=BB28_4 Depth=1
	s_or_b32 exec_lo, exec_lo, s50
.LBB28_102:                             ;   in Loop: Header=BB28_4 Depth=1
	s_cbranch_execnz .LBB28_3
.LBB28_103:                             ;   in Loop: Header=BB28_4 Depth=1
	s_and_saveexec_b32 s46, s1
	s_cbranch_execz .LBB28_2
; %bb.104:                              ;   in Loop: Header=BB28_4 Depth=1
	v_add_co_u32 v1, vcc_lo, v34, s84
	v_add_co_ci_u32_e64 v2, null, s83, v35, vcc_lo
	s_lshl_b64 s[42:43], s[26:27], 3
	v_mov_b32_e32 v9, v0
	s_add_u32 s47, s81, s42
	s_addc_u32 s48, s82, s43
	s_mov_b32 s49, 0
	s_branch .LBB28_106
.LBB28_105:                             ;   in Loop: Header=BB28_106 Depth=2
	v_add_nc_u32_e32 v9, s24, v9
	v_add_co_u32 v3, vcc_lo, s47, v3
	v_add_co_ci_u32_e64 v4, null, s48, v4, vcc_lo
	v_cmp_le_i32_e32 vcc_lo, s56, v9
	v_add_co_u32 v1, s2, v1, s38
	v_add_co_ci_u32_e64 v2, null, s39, v2, s2
	s_or_b32 s49, vcc_lo, s49
	s_waitcnt vmcnt(0)
	global_store_dwordx2 v[3:4], v[5:6], off offset:-8
	s_andn2_b32 exec_lo, exec_lo, s49
	s_cbranch_execz .LBB28_2
.LBB28_106:                             ;   Parent Loop BB28_4 Depth=1
                                        ; =>  This Loop Header: Depth=2
                                        ;       Child Loop BB28_107 Depth 3
	v_mad_i64_i32 v[3:4], null, v9, s20, 0
	v_mov_b32_e32 v8, v2
	v_mov_b32_e32 v7, v1
	s_mov_b64 s[42:43], s[40:41]
	s_mov_b64 s[44:45], s[16:17]
	s_mov_b32 s2, s4
	v_lshlrev_b64 v[3:4], 3, v[3:4]
	v_add_co_u32 v5, vcc_lo, s81, v3
	v_add_co_ci_u32_e64 v6, null, s82, v4, vcc_lo
	s_andn2_b32 vcc_lo, exec_lo, s71
	global_load_dwordx2 v[5:6], v[5:6], off
	s_cbranch_vccnz .LBB28_105
	.p2align	6
.LBB28_107:                             ;   Parent Loop BB28_4 Depth=1
                                        ;     Parent Loop BB28_106 Depth=2
                                        ; =>    This Inner Loop Header: Depth=3
	global_load_dwordx2 v[10:11], v[7:8], off offset:-4
	s_clause 0x1
	global_load_dword v37, v36, s[44:45]
	global_load_dword v38, v36, s[42:43]
	s_add_i32 s2, s2, -1
	s_add_u32 s44, s44, 4
	s_addc_u32 s45, s45, 0
	s_add_u32 s42, s42, 4
	s_addc_u32 s43, s43, 0
	s_cmp_eq_u32 s2, 0
	s_waitcnt vmcnt(1)
	v_mul_f32_e32 v12, v37, v10
	v_mul_f32_e32 v13, v37, v11
	;; [unrolled: 1-line block ×4, first 2 shown]
	s_waitcnt vmcnt(0)
	v_fmac_f32_e32 v12, v5, v38
	v_fmac_f32_e32 v13, v6, v38
	v_fma_f32 v5, v38, v10, -v39
	v_fma_f32 v6, v38, v11, -v37
	global_store_dwordx2 v[7:8], v[12:13], off offset:-12
	v_add_co_u32 v7, vcc_lo, v7, 8
	v_add_co_ci_u32_e64 v8, null, 0, v8, vcc_lo
	s_cbranch_scc0 .LBB28_107
	s_branch .LBB28_105
.LBB28_108:
	s_endpgm
	.section	.rodata,"a",@progbits
	.p2align	6, 0x0
	.amdhsa_kernel _ZN9rocsolver6v33100L11lasr_kernelI19rocblas_complex_numIfEfPS3_iEEv13rocblas_side_14rocblas_pivot_15rocblas_direct_T2_S8_PT0_lSA_lT1_lS8_lS8_
		.amdhsa_group_segment_fixed_size 0
		.amdhsa_private_segment_fixed_size 0
		.amdhsa_kernarg_size 352
		.amdhsa_user_sgpr_count 6
		.amdhsa_user_sgpr_private_segment_buffer 1
		.amdhsa_user_sgpr_dispatch_ptr 0
		.amdhsa_user_sgpr_queue_ptr 0
		.amdhsa_user_sgpr_kernarg_segment_ptr 1
		.amdhsa_user_sgpr_dispatch_id 0
		.amdhsa_user_sgpr_flat_scratch_init 0
		.amdhsa_user_sgpr_private_segment_size 0
		.amdhsa_wavefront_size32 1
		.amdhsa_uses_dynamic_stack 0
		.amdhsa_system_sgpr_private_segment_wavefront_offset 0
		.amdhsa_system_sgpr_workgroup_id_x 1
		.amdhsa_system_sgpr_workgroup_id_y 0
		.amdhsa_system_sgpr_workgroup_id_z 1
		.amdhsa_system_sgpr_workgroup_info 0
		.amdhsa_system_vgpr_workitem_id 0
		.amdhsa_next_free_vgpr 45
		.amdhsa_next_free_sgpr 89
		.amdhsa_reserve_vcc 1
		.amdhsa_reserve_flat_scratch 0
		.amdhsa_float_round_mode_32 0
		.amdhsa_float_round_mode_16_64 0
		.amdhsa_float_denorm_mode_32 3
		.amdhsa_float_denorm_mode_16_64 3
		.amdhsa_dx10_clamp 1
		.amdhsa_ieee_mode 1
		.amdhsa_fp16_overflow 0
		.amdhsa_workgroup_processor_mode 1
		.amdhsa_memory_ordered 1
		.amdhsa_forward_progress 1
		.amdhsa_shared_vgpr_count 0
		.amdhsa_exception_fp_ieee_invalid_op 0
		.amdhsa_exception_fp_denorm_src 0
		.amdhsa_exception_fp_ieee_div_zero 0
		.amdhsa_exception_fp_ieee_overflow 0
		.amdhsa_exception_fp_ieee_underflow 0
		.amdhsa_exception_fp_ieee_inexact 0
		.amdhsa_exception_int_div_zero 0
	.end_amdhsa_kernel
	.section	.text._ZN9rocsolver6v33100L11lasr_kernelI19rocblas_complex_numIfEfPS3_iEEv13rocblas_side_14rocblas_pivot_15rocblas_direct_T2_S8_PT0_lSA_lT1_lS8_lS8_,"axG",@progbits,_ZN9rocsolver6v33100L11lasr_kernelI19rocblas_complex_numIfEfPS3_iEEv13rocblas_side_14rocblas_pivot_15rocblas_direct_T2_S8_PT0_lSA_lT1_lS8_lS8_,comdat
.Lfunc_end28:
	.size	_ZN9rocsolver6v33100L11lasr_kernelI19rocblas_complex_numIfEfPS3_iEEv13rocblas_side_14rocblas_pivot_15rocblas_direct_T2_S8_PT0_lSA_lT1_lS8_lS8_, .Lfunc_end28-_ZN9rocsolver6v33100L11lasr_kernelI19rocblas_complex_numIfEfPS3_iEEv13rocblas_side_14rocblas_pivot_15rocblas_direct_T2_S8_PT0_lSA_lT1_lS8_lS8_
                                        ; -- End function
	.set _ZN9rocsolver6v33100L11lasr_kernelI19rocblas_complex_numIfEfPS3_iEEv13rocblas_side_14rocblas_pivot_15rocblas_direct_T2_S8_PT0_lSA_lT1_lS8_lS8_.num_vgpr, 45
	.set _ZN9rocsolver6v33100L11lasr_kernelI19rocblas_complex_numIfEfPS3_iEEv13rocblas_side_14rocblas_pivot_15rocblas_direct_T2_S8_PT0_lSA_lT1_lS8_lS8_.num_agpr, 0
	.set _ZN9rocsolver6v33100L11lasr_kernelI19rocblas_complex_numIfEfPS3_iEEv13rocblas_side_14rocblas_pivot_15rocblas_direct_T2_S8_PT0_lSA_lT1_lS8_lS8_.numbered_sgpr, 89
	.set _ZN9rocsolver6v33100L11lasr_kernelI19rocblas_complex_numIfEfPS3_iEEv13rocblas_side_14rocblas_pivot_15rocblas_direct_T2_S8_PT0_lSA_lT1_lS8_lS8_.num_named_barrier, 0
	.set _ZN9rocsolver6v33100L11lasr_kernelI19rocblas_complex_numIfEfPS3_iEEv13rocblas_side_14rocblas_pivot_15rocblas_direct_T2_S8_PT0_lSA_lT1_lS8_lS8_.private_seg_size, 0
	.set _ZN9rocsolver6v33100L11lasr_kernelI19rocblas_complex_numIfEfPS3_iEEv13rocblas_side_14rocblas_pivot_15rocblas_direct_T2_S8_PT0_lSA_lT1_lS8_lS8_.uses_vcc, 1
	.set _ZN9rocsolver6v33100L11lasr_kernelI19rocblas_complex_numIfEfPS3_iEEv13rocblas_side_14rocblas_pivot_15rocblas_direct_T2_S8_PT0_lSA_lT1_lS8_lS8_.uses_flat_scratch, 0
	.set _ZN9rocsolver6v33100L11lasr_kernelI19rocblas_complex_numIfEfPS3_iEEv13rocblas_side_14rocblas_pivot_15rocblas_direct_T2_S8_PT0_lSA_lT1_lS8_lS8_.has_dyn_sized_stack, 0
	.set _ZN9rocsolver6v33100L11lasr_kernelI19rocblas_complex_numIfEfPS3_iEEv13rocblas_side_14rocblas_pivot_15rocblas_direct_T2_S8_PT0_lSA_lT1_lS8_lS8_.has_recursion, 0
	.set _ZN9rocsolver6v33100L11lasr_kernelI19rocblas_complex_numIfEfPS3_iEEv13rocblas_side_14rocblas_pivot_15rocblas_direct_T2_S8_PT0_lSA_lT1_lS8_lS8_.has_indirect_call, 0
	.section	.AMDGPU.csdata,"",@progbits
; Kernel info:
; codeLenInByte = 5256
; TotalNumSgprs: 91
; NumVgprs: 45
; ScratchSize: 0
; MemoryBound: 0
; FloatMode: 240
; IeeeMode: 1
; LDSByteSize: 0 bytes/workgroup (compile time only)
; SGPRBlocks: 0
; VGPRBlocks: 5
; NumSGPRsForWavesPerEU: 91
; NumVGPRsForWavesPerEU: 45
; Occupancy: 16
; WaveLimiterHint : 0
; COMPUTE_PGM_RSRC2:SCRATCH_EN: 0
; COMPUTE_PGM_RSRC2:USER_SGPR: 6
; COMPUTE_PGM_RSRC2:TRAP_HANDLER: 0
; COMPUTE_PGM_RSRC2:TGID_X_EN: 1
; COMPUTE_PGM_RSRC2:TGID_Y_EN: 0
; COMPUTE_PGM_RSRC2:TGID_Z_EN: 1
; COMPUTE_PGM_RSRC2:TIDIG_COMP_CNT: 0
	.section	.text._ZN9rocsolver6v33100L11scal_kernelIf19rocblas_complex_numIfEiEEvT1_T_PT0_S4_,"axG",@progbits,_ZN9rocsolver6v33100L11scal_kernelIf19rocblas_complex_numIfEiEEvT1_T_PT0_S4_,comdat
	.globl	_ZN9rocsolver6v33100L11scal_kernelIf19rocblas_complex_numIfEiEEvT1_T_PT0_S4_ ; -- Begin function _ZN9rocsolver6v33100L11scal_kernelIf19rocblas_complex_numIfEiEEvT1_T_PT0_S4_
	.p2align	8
	.type	_ZN9rocsolver6v33100L11scal_kernelIf19rocblas_complex_numIfEiEEvT1_T_PT0_S4_,@function
_ZN9rocsolver6v33100L11scal_kernelIf19rocblas_complex_numIfEiEEvT1_T_PT0_S4_: ; @_ZN9rocsolver6v33100L11scal_kernelIf19rocblas_complex_numIfEiEEvT1_T_PT0_S4_
; %bb.0:
	s_load_dwordx2 s[2:3], s[4:5], 0x0
	s_waitcnt lgkmcnt(0)
	s_cmp_lt_i32 s2, 1
	s_cbranch_scc1 .LBB29_10
; %bb.1:
	s_clause 0x3
	s_load_dword s0, s[4:5], 0x24
	s_load_dword s7, s[4:5], 0x18
	;; [unrolled: 1-line block ×3, first 2 shown]
	s_load_dwordx2 s[8:9], s[4:5], 0x8
	s_mov_b32 s5, -1
	s_waitcnt lgkmcnt(0)
	s_and_b32 s4, s0, 0xffff
	v_mad_u64_u32 v[0:1], null, s6, s4, v[0:1]
	s_mul_i32 s4, s7, s4
	s_cmp_eq_u32 s1, 1
	v_cmp_gt_i32_e64 s0, s2, v0
	s_cbranch_scc1 .LBB29_6
; %bb.2:
	s_and_saveexec_b32 s5, s0
	s_cbranch_execz .LBB29_5
; %bb.3:
	v_mad_i64_i32 v[1:2], null, s1, v0, 0
	v_mov_b32_e32 v3, v0
	s_mul_hi_i32 s7, s1, s4
	s_mul_i32 s6, s1, s4
	s_mov_b32 s10, 0
	s_lshl_b64 s[6:7], s[6:7], 3
	v_lshlrev_b64 v[1:2], 3, v[1:2]
	v_add_co_u32 v1, vcc_lo, s8, v1
	v_add_co_ci_u32_e64 v2, null, s9, v2, vcc_lo
	v_add_co_u32 v1, vcc_lo, v1, 4
	v_add_co_ci_u32_e64 v2, null, 0, v2, vcc_lo
.LBB29_4:                               ; =>This Inner Loop Header: Depth=1
	global_load_dwordx2 v[4:5], v[1:2], off offset:-4
	v_add_nc_u32_e32 v3, s4, v3
	v_cmp_le_i32_e32 vcc_lo, s2, v3
	s_or_b32 s10, vcc_lo, s10
	s_waitcnt vmcnt(0)
	v_mul_f32_e32 v4, s3, v4
	v_mul_f32_e32 v5, s3, v5
	global_store_dwordx2 v[1:2], v[4:5], off offset:-4
	v_add_co_u32 v1, s1, v1, s6
	v_add_co_ci_u32_e64 v2, null, s7, v2, s1
	s_andn2_b32 exec_lo, exec_lo, s10
	s_cbranch_execnz .LBB29_4
.LBB29_5:
	s_or_b32 exec_lo, exec_lo, s5
	s_mov_b32 s5, 0
.LBB29_6:
	s_andn2_b32 vcc_lo, exec_lo, s5
	s_cbranch_vccnz .LBB29_10
; %bb.7:
	s_and_saveexec_b32 s1, s0
	s_cbranch_execz .LBB29_10
; %bb.8:
	v_ashrrev_i32_e32 v1, 31, v0
	s_ashr_i32 s5, s4, 31
	s_mov_b32 s1, 0
	s_lshl_b64 s[6:7], s[4:5], 3
	v_lshlrev_b64 v[1:2], 3, v[0:1]
	v_add_co_u32 v1, vcc_lo, s8, v1
	v_add_co_ci_u32_e64 v2, null, s9, v2, vcc_lo
	v_add_co_u32 v1, vcc_lo, v1, 4
	v_add_co_ci_u32_e64 v2, null, 0, v2, vcc_lo
.LBB29_9:                               ; =>This Inner Loop Header: Depth=1
	global_load_dwordx2 v[3:4], v[1:2], off offset:-4
	v_add_nc_u32_e32 v0, s4, v0
	v_cmp_le_i32_e32 vcc_lo, s2, v0
	s_or_b32 s1, vcc_lo, s1
	s_waitcnt vmcnt(0)
	v_mul_f32_e32 v3, s3, v3
	v_mul_f32_e32 v4, s3, v4
	global_store_dwordx2 v[1:2], v[3:4], off offset:-4
	v_add_co_u32 v1, s0, v1, s6
	v_add_co_ci_u32_e64 v2, null, s7, v2, s0
	s_andn2_b32 exec_lo, exec_lo, s1
	s_cbranch_execnz .LBB29_9
.LBB29_10:
	s_endpgm
	.section	.rodata,"a",@progbits
	.p2align	6, 0x0
	.amdhsa_kernel _ZN9rocsolver6v33100L11scal_kernelIf19rocblas_complex_numIfEiEEvT1_T_PT0_S4_
		.amdhsa_group_segment_fixed_size 0
		.amdhsa_private_segment_fixed_size 0
		.amdhsa_kernarg_size 280
		.amdhsa_user_sgpr_count 6
		.amdhsa_user_sgpr_private_segment_buffer 1
		.amdhsa_user_sgpr_dispatch_ptr 0
		.amdhsa_user_sgpr_queue_ptr 0
		.amdhsa_user_sgpr_kernarg_segment_ptr 1
		.amdhsa_user_sgpr_dispatch_id 0
		.amdhsa_user_sgpr_flat_scratch_init 0
		.amdhsa_user_sgpr_private_segment_size 0
		.amdhsa_wavefront_size32 1
		.amdhsa_uses_dynamic_stack 0
		.amdhsa_system_sgpr_private_segment_wavefront_offset 0
		.amdhsa_system_sgpr_workgroup_id_x 1
		.amdhsa_system_sgpr_workgroup_id_y 0
		.amdhsa_system_sgpr_workgroup_id_z 0
		.amdhsa_system_sgpr_workgroup_info 0
		.amdhsa_system_vgpr_workitem_id 0
		.amdhsa_next_free_vgpr 6
		.amdhsa_next_free_sgpr 11
		.amdhsa_reserve_vcc 1
		.amdhsa_reserve_flat_scratch 0
		.amdhsa_float_round_mode_32 0
		.amdhsa_float_round_mode_16_64 0
		.amdhsa_float_denorm_mode_32 3
		.amdhsa_float_denorm_mode_16_64 3
		.amdhsa_dx10_clamp 1
		.amdhsa_ieee_mode 1
		.amdhsa_fp16_overflow 0
		.amdhsa_workgroup_processor_mode 1
		.amdhsa_memory_ordered 1
		.amdhsa_forward_progress 1
		.amdhsa_shared_vgpr_count 0
		.amdhsa_exception_fp_ieee_invalid_op 0
		.amdhsa_exception_fp_denorm_src 0
		.amdhsa_exception_fp_ieee_div_zero 0
		.amdhsa_exception_fp_ieee_overflow 0
		.amdhsa_exception_fp_ieee_underflow 0
		.amdhsa_exception_fp_ieee_inexact 0
		.amdhsa_exception_int_div_zero 0
	.end_amdhsa_kernel
	.section	.text._ZN9rocsolver6v33100L11scal_kernelIf19rocblas_complex_numIfEiEEvT1_T_PT0_S4_,"axG",@progbits,_ZN9rocsolver6v33100L11scal_kernelIf19rocblas_complex_numIfEiEEvT1_T_PT0_S4_,comdat
.Lfunc_end29:
	.size	_ZN9rocsolver6v33100L11scal_kernelIf19rocblas_complex_numIfEiEEvT1_T_PT0_S4_, .Lfunc_end29-_ZN9rocsolver6v33100L11scal_kernelIf19rocblas_complex_numIfEiEEvT1_T_PT0_S4_
                                        ; -- End function
	.set _ZN9rocsolver6v33100L11scal_kernelIf19rocblas_complex_numIfEiEEvT1_T_PT0_S4_.num_vgpr, 6
	.set _ZN9rocsolver6v33100L11scal_kernelIf19rocblas_complex_numIfEiEEvT1_T_PT0_S4_.num_agpr, 0
	.set _ZN9rocsolver6v33100L11scal_kernelIf19rocblas_complex_numIfEiEEvT1_T_PT0_S4_.numbered_sgpr, 11
	.set _ZN9rocsolver6v33100L11scal_kernelIf19rocblas_complex_numIfEiEEvT1_T_PT0_S4_.num_named_barrier, 0
	.set _ZN9rocsolver6v33100L11scal_kernelIf19rocblas_complex_numIfEiEEvT1_T_PT0_S4_.private_seg_size, 0
	.set _ZN9rocsolver6v33100L11scal_kernelIf19rocblas_complex_numIfEiEEvT1_T_PT0_S4_.uses_vcc, 1
	.set _ZN9rocsolver6v33100L11scal_kernelIf19rocblas_complex_numIfEiEEvT1_T_PT0_S4_.uses_flat_scratch, 0
	.set _ZN9rocsolver6v33100L11scal_kernelIf19rocblas_complex_numIfEiEEvT1_T_PT0_S4_.has_dyn_sized_stack, 0
	.set _ZN9rocsolver6v33100L11scal_kernelIf19rocblas_complex_numIfEiEEvT1_T_PT0_S4_.has_recursion, 0
	.set _ZN9rocsolver6v33100L11scal_kernelIf19rocblas_complex_numIfEiEEvT1_T_PT0_S4_.has_indirect_call, 0
	.section	.AMDGPU.csdata,"",@progbits
; Kernel info:
; codeLenInByte = 388
; TotalNumSgprs: 13
; NumVgprs: 6
; ScratchSize: 0
; MemoryBound: 0
; FloatMode: 240
; IeeeMode: 1
; LDSByteSize: 0 bytes/workgroup (compile time only)
; SGPRBlocks: 0
; VGPRBlocks: 0
; NumSGPRsForWavesPerEU: 13
; NumVGPRsForWavesPerEU: 6
; Occupancy: 16
; WaveLimiterHint : 0
; COMPUTE_PGM_RSRC2:SCRATCH_EN: 0
; COMPUTE_PGM_RSRC2:USER_SGPR: 6
; COMPUTE_PGM_RSRC2:TRAP_HANDLER: 0
; COMPUTE_PGM_RSRC2:TGID_X_EN: 1
; COMPUTE_PGM_RSRC2:TGID_Y_EN: 0
; COMPUTE_PGM_RSRC2:TGID_Z_EN: 0
; COMPUTE_PGM_RSRC2:TIDIG_COMP_CNT: 0
	.section	.text._ZN9rocsolver6v33100L17bdsqr_lower2upperI19rocblas_complex_numIfEfPS3_S4_EEviiiPT0_lS6_lT1_iilT2_iilPiS6_lS9_,"axG",@progbits,_ZN9rocsolver6v33100L17bdsqr_lower2upperI19rocblas_complex_numIfEfPS3_S4_EEviiiPT0_lS6_lT1_iilT2_iilPiS6_lS9_,comdat
	.globl	_ZN9rocsolver6v33100L17bdsqr_lower2upperI19rocblas_complex_numIfEfPS3_S4_EEviiiPT0_lS6_lT1_iilT2_iilPiS6_lS9_ ; -- Begin function _ZN9rocsolver6v33100L17bdsqr_lower2upperI19rocblas_complex_numIfEfPS3_S4_EEviiiPT0_lS6_lT1_iilT2_iilPiS6_lS9_
	.p2align	8
	.type	_ZN9rocsolver6v33100L17bdsqr_lower2upperI19rocblas_complex_numIfEfPS3_S4_EEviiiPT0_lS6_lT1_iilT2_iilPiS6_lS9_,@function
_ZN9rocsolver6v33100L17bdsqr_lower2upperI19rocblas_complex_numIfEfPS3_S4_EEviiiPT0_lS6_lT1_iilT2_iilPiS6_lS9_: ; @_ZN9rocsolver6v33100L17bdsqr_lower2upperI19rocblas_complex_numIfEfPS3_S4_EEviiiPT0_lS6_lT1_iilT2_iilPiS6_lS9_
; %bb.0:
	s_load_dwordx2 s[0:1], s[4:5], 0x78
	s_mov_b32 s28, s7
	s_ashr_i32 s29, s7, 31
	s_lshl_b64 s[2:3], s[28:29], 2
	s_waitcnt lgkmcnt(0)
	s_add_u32 s0, s0, s2
	s_addc_u32 s1, s1, s3
	s_load_dword s0, s[0:1], 0x8
	s_waitcnt lgkmcnt(0)
	s_cmp_lg_u32 s0, 0
	s_cbranch_scc1 .LBB30_34
; %bb.1:
	s_clause 0x1
	s_load_dwordx8 s[8:15], s[4:5], 0x30
	s_load_dwordx4 s[24:27], s[4:5], 0x68
	s_mov_b64 s[2:3], 0
	s_mov_b64 s[6:7], 0
	s_waitcnt lgkmcnt(0)
	s_cmp_eq_u64 s[8:9], 0
	s_cbranch_scc1 .LBB30_3
; %bb.2:
	s_mul_i32 s0, s12, s29
	s_mul_hi_u32 s1, s12, s28
	s_mul_i32 s6, s13, s28
	s_add_i32 s0, s1, s0
	s_ashr_i32 s7, s10, 31
	s_add_i32 s1, s0, s6
	s_mul_i32 s0, s12, s28
	s_mov_b32 s6, s10
	s_lshl_b64 s[0:1], s[0:1], 3
	s_add_u32 s8, s8, s0
	s_addc_u32 s9, s9, s1
	s_lshl_b64 s[0:1], s[6:7], 3
	s_add_u32 s6, s8, s0
	s_addc_u32 s7, s9, s1
.LBB30_3:
	s_load_dwordx2 s[0:1], s[4:5], 0x50
	s_cmp_eq_u64 s[14:15], 0
	s_cbranch_scc1 .LBB30_5
; %bb.4:
	s_load_dwordx2 s[2:3], s[4:5], 0x58
	s_waitcnt lgkmcnt(0)
	s_mul_i32 s8, s2, s29
	s_mul_hi_u32 s9, s2, s28
	s_mul_i32 s3, s3, s28
	s_add_i32 s8, s9, s8
	s_mul_i32 s2, s2, s28
	s_add_i32 s3, s8, s3
	s_ashr_i32 s9, s0, 31
	s_lshl_b64 s[2:3], s[2:3], 3
	s_mov_b32 s8, s0
	s_add_u32 s0, s14, s2
	s_addc_u32 s10, s15, s3
	s_lshl_b64 s[2:3], s[8:9], 3
	s_add_u32 s2, s0, s2
	s_addc_u32 s3, s10, s3
.LBB30_5:
	s_load_dwordx4 s[20:23], s[4:5], 0x0
	s_waitcnt lgkmcnt(0)
	s_mul_i32 s0, s26, s29
	s_mul_hi_u32 s8, s26, s28
	s_mov_b32 s10, exec_lo
	s_add_i32 s0, s8, s0
	s_mul_i32 s8, s27, s28
	s_add_i32 s9, s0, s8
	s_mul_i32 s8, s26, s28
	v_cmpx_eq_u32_e32 0, v0
	s_cbranch_execz .LBB30_22
; %bb.6:
	s_load_dwordx8 s[12:19], s[4:5], 0x10
	s_waitcnt lgkmcnt(0)
	s_mul_i32 s0, s14, s29
	s_mul_hi_u32 s23, s14, s28
	s_mul_i32 s15, s15, s28
	s_add_i32 s0, s23, s0
	s_mul_i32 s14, s14, s28
	s_add_i32 s15, s0, s15
	s_lshl_b64 s[30:31], s[14:15], 2
	s_add_u32 s14, s12, s30
	s_addc_u32 s15, s13, s31
	s_add_i32 s26, s20, -1
	s_load_dword s0, s[14:15], 0x0
	s_cmp_lt_i32 s20, 2
	s_waitcnt lgkmcnt(0)
	v_mov_b32_e32 v1, s0
	s_cbranch_scc1 .LBB30_21
; %bb.7:
	s_lshl_b64 s[34:35], s[8:9], 2
	s_mul_i32 s29, s18, s29
	s_mul_hi_u32 s33, s18, s28
	s_add_u32 s23, s24, s34
	s_addc_u32 s27, s25, s35
	s_add_i32 s29, s33, s29
	s_mul_i32 s19, s19, s28
	s_mul_i32 s18, s18, s28
	s_add_i32 s19, s29, s19
	v_mov_b32_e32 v1, s0
	s_lshl_b64 s[18:19], s[18:19], 2
	v_mov_b32_e32 v2, 0
	s_add_u32 s28, s16, s18
	s_addc_u32 s29, s17, s19
	s_or_b32 s18, s22, s21
	s_load_dword s16, s[28:29], 0x0
	s_cmp_lg_u32 s18, 0
	s_mov_b32 s17, 0
	s_cselect_b32 s33, -1, 0
	s_add_u32 s18, s23, 16
	s_addc_u32 s19, s27, 0
	s_add_u32 s0, s12, s30
	s_addc_u32 s13, s13, s31
	;; [unrolled: 2-line block ×4, first 2 shown]
	s_mov_b32 s30, 0
	s_waitcnt lgkmcnt(0)
	v_mov_b32_e32 v3, s16
	s_branch .LBB30_9
.LBB30_8:                               ;   in Loop: Header=BB30_9 Depth=1
	s_add_i32 s30, s30, 1
	s_add_u32 s18, s18, 4
	s_addc_u32 s19, s19, 0
	s_add_u32 s12, s12, 4
	s_waitcnt vmcnt(0)
	v_mul_f32_e32 v1, v4, v1
	s_addc_u32 s13, s13, 0
	s_add_u32 s28, s28, 4
	s_addc_u32 s29, s29, 0
	s_cmp_lg_u32 s26, s30
	s_cbranch_scc0 .LBB30_21
.LBB30_9:                               ; =>This Inner Loop Header: Depth=1
	v_cmp_eq_f32_e32 vcc_lo, 0, v3
	s_cbranch_vccnz .LBB30_13
; %bb.10:                               ;   in Loop: Header=BB30_9 Depth=1
	v_cmp_neq_f32_e32 vcc_lo, 0, v1
	s_cbranch_vccz .LBB30_14
; %bb.11:                               ;   in Loop: Header=BB30_9 Depth=1
	v_cmp_ngt_f32_e64 s0, |v3|, |v1|
	s_and_b32 vcc_lo, exec_lo, s0
	s_cbranch_vccz .LBB30_15
; %bb.12:                               ;   in Loop: Header=BB30_9 Depth=1
	v_div_scale_f32 v4, null, v1, v1, -v3
	v_div_scale_f32 v7, vcc_lo, -v3, v1, -v3
	v_rcp_f32_e32 v5, v4
	v_fma_f32 v6, -v4, v5, 1.0
	v_fmac_f32_e32 v5, v6, v5
	v_mul_f32_e32 v6, v7, v5
	v_fma_f32 v8, -v4, v6, v7
	v_fmac_f32_e32 v6, v8, v5
	v_fma_f32 v4, -v4, v6, v7
	v_div_fmas_f32 v4, v4, v5, v6
	v_div_fixup_f32 v5, v4, v1, -v3
	v_fma_f32 v4, v5, v5, 1.0
	v_mul_f32_e32 v6, 0x4f800000, v4
	v_cmp_gt_f32_e32 vcc_lo, 0xf800000, v4
	v_cndmask_b32_e32 v4, v4, v6, vcc_lo
	v_sqrt_f32_e32 v6, v4
	v_add_nc_u32_e32 v7, -1, v6
	v_add_nc_u32_e32 v8, 1, v6
	v_fma_f32 v9, -v7, v6, v4
	v_fma_f32 v10, -v8, v6, v4
	v_cmp_ge_f32_e64 s0, 0, v9
	v_cndmask_b32_e64 v6, v6, v7, s0
	v_cmp_lt_f32_e64 s0, 0, v10
	v_cndmask_b32_e64 v6, v6, v8, s0
	v_mul_f32_e32 v7, 0x37800000, v6
	v_cndmask_b32_e32 v6, v6, v7, vcc_lo
	v_cmp_class_f32_e64 vcc_lo, v4, 0x260
	v_cndmask_b32_e32 v4, v6, v4, vcc_lo
	v_div_scale_f32 v6, null, v4, v4, 1.0
	v_rcp_f32_e32 v7, v6
	v_fma_f32 v8, -v6, v7, 1.0
	v_fmac_f32_e32 v7, v8, v7
	v_div_scale_f32 v8, vcc_lo, 1.0, v4, 1.0
	v_mul_f32_e32 v9, v8, v7
	v_fma_f32 v10, -v6, v9, v8
	v_fmac_f32_e32 v9, v10, v7
	v_fma_f32 v6, -v6, v9, v8
	v_div_fmas_f32 v6, v6, v7, v9
	v_div_fixup_f32 v4, v6, v4, 1.0
	v_mul_f32_e32 v5, v5, v4
	s_cbranch_execz .LBB30_16
	s_branch .LBB30_17
.LBB30_13:                              ;   in Loop: Header=BB30_9 Depth=1
	v_mov_b32_e32 v5, 0
	v_mov_b32_e32 v4, 1.0
	s_branch .LBB30_19
.LBB30_14:                              ;   in Loop: Header=BB30_9 Depth=1
	v_xor_b32_e32 v1, 0x80000000, v3
                                        ; implicit-def: $vgpr4
                                        ; implicit-def: $vgpr5
	s_cbranch_execnz .LBB30_18
	s_branch .LBB30_19
.LBB30_15:                              ;   in Loop: Header=BB30_9 Depth=1
                                        ; implicit-def: $vgpr4
                                        ; implicit-def: $vgpr5
.LBB30_16:                              ;   in Loop: Header=BB30_9 Depth=1
	v_div_scale_f32 v4, null, v3, v3, -v1
	v_div_scale_f32 v7, vcc_lo, -v1, v3, -v1
	v_rcp_f32_e32 v5, v4
	v_fma_f32 v6, -v4, v5, 1.0
	v_fmac_f32_e32 v5, v6, v5
	v_mul_f32_e32 v6, v7, v5
	v_fma_f32 v8, -v4, v6, v7
	v_fmac_f32_e32 v6, v8, v5
	v_fma_f32 v4, -v4, v6, v7
	v_div_fmas_f32 v4, v4, v5, v6
	v_div_fixup_f32 v4, v4, v3, -v1
	v_fma_f32 v5, v4, v4, 1.0
	v_mul_f32_e32 v6, 0x4f800000, v5
	v_cmp_gt_f32_e32 vcc_lo, 0xf800000, v5
	v_cndmask_b32_e32 v5, v5, v6, vcc_lo
	v_sqrt_f32_e32 v6, v5
	v_add_nc_u32_e32 v7, -1, v6
	v_add_nc_u32_e32 v8, 1, v6
	v_fma_f32 v9, -v7, v6, v5
	v_fma_f32 v10, -v8, v6, v5
	v_cmp_ge_f32_e64 s0, 0, v9
	v_cndmask_b32_e64 v6, v6, v7, s0
	v_cmp_lt_f32_e64 s0, 0, v10
	v_cndmask_b32_e64 v6, v6, v8, s0
	v_mul_f32_e32 v7, 0x37800000, v6
	v_cndmask_b32_e32 v6, v6, v7, vcc_lo
	v_cmp_class_f32_e64 vcc_lo, v5, 0x260
	v_cndmask_b32_e32 v5, v6, v5, vcc_lo
	v_div_scale_f32 v6, null, v5, v5, 1.0
	v_rcp_f32_e32 v7, v6
	v_fma_f32 v8, -v6, v7, 1.0
	v_fmac_f32_e32 v7, v8, v7
	v_div_scale_f32 v8, vcc_lo, 1.0, v5, 1.0
	v_mul_f32_e32 v9, v8, v7
	v_fma_f32 v10, -v6, v9, v8
	v_fmac_f32_e32 v9, v10, v7
	v_fma_f32 v6, -v6, v9, v8
	v_div_fmas_f32 v6, v6, v7, v9
	v_div_fixup_f32 v5, v6, v5, 1.0
	v_mul_f32_e32 v4, v4, v5
.LBB30_17:                              ;   in Loop: Header=BB30_9 Depth=1
	v_mul_f32_e32 v3, v3, v5
	v_fma_f32 v1, v1, v4, -v3
	s_branch .LBB30_19
.LBB30_18:                              ;   in Loop: Header=BB30_9 Depth=1
	v_mov_b32_e32 v4, 0
	v_mov_b32_e32 v5, 1.0
.LBB30_19:                              ;   in Loop: Header=BB30_9 Depth=1
	global_load_dword v6, v2, s[12:13]
	global_store_dword v2, v1, s[12:13] offset:-4
	global_load_dword v3, v2, s[28:29]
	s_andn2_b32 vcc_lo, exec_lo, s33
	s_waitcnt vmcnt(1)
	v_mul_f32_e64 v1, v6, -v5
	global_store_dword v2, v1, s[28:29] offset:-4
	global_load_dword v1, v2, s[12:13]
	s_cbranch_vccnz .LBB30_8
; %bb.20:                               ;   in Loop: Header=BB30_9 Depth=1
	s_add_i32 s16, s20, s30
	s_lshl_b64 s[34:35], s[16:17], 2
	s_add_u32 s34, s23, s34
	s_addc_u32 s35, s27, s35
	global_store_dword v2, v4, s[18:19]
	global_store_dword v2, v5, s[34:35] offset:16
	s_branch .LBB30_8
.LBB30_21:
	s_ashr_i32 s27, s26, 31
	v_mov_b32_e32 v2, 0
	s_lshl_b64 s[12:13], s[26:27], 2
	s_add_u32 s12, s14, s12
	s_addc_u32 s13, s15, s13
	global_store_dword v2, v1, s[12:13]
.LBB30_22:
	s_or_b32 exec_lo, exec_lo, s10
	s_mov_b32 s23, exec_lo
	s_waitcnt_vscnt null, 0x0
	s_barrier
	buffer_gl0_inv
	v_cmpx_gt_i32_e64 s21, v0
	s_cbranch_execz .LBB30_28
; %bb.23:
	s_load_dword s0, s[4:5], 0x8c
	s_add_i32 s28, s20, -1
	s_cmp_gt_i32 s20, 1
	s_mul_i32 s18, s11, s28
	s_cselect_b32 s29, -1, 0
	s_ashr_i32 s19, s18, 31
	s_mov_b32 s10, s11
	v_mov_b32_e32 v8, 0
	v_mov_b32_e32 v1, v0
	s_mov_b32 s13, 0
	s_mov_b32 s12, s20
	s_waitcnt lgkmcnt(0)
	s_and_b32 s30, s0, 0xffff
	s_add_u32 s31, s6, 4
	s_addc_u32 s33, s7, 0
	s_ashr_i32 s11, s11, 31
	s_lshl_b64 s[14:15], s[8:9], 2
	s_lshl_b64 s[10:11], s[10:11], 3
	s_add_u32 s0, s24, s14
	s_addc_u32 s15, s25, s15
	s_add_u32 s14, s0, 16
	s_addc_u32 s15, s15, 0
	s_lshl_b64 s[16:17], s[12:13], 2
	s_lshl_b64 s[18:19], s[18:19], 3
	s_branch .LBB30_25
.LBB30_24:                              ;   in Loop: Header=BB30_25 Depth=1
	v_add_nc_u32_e32 v1, s30, v1
	v_add_co_u32 v2, s0, v2, s18
	v_add_co_ci_u32_e64 v3, null, s19, v3, s0
	v_cmp_le_i32_e32 vcc_lo, s21, v1
	s_waitcnt vmcnt(0)
	global_store_dwordx2 v[2:3], v[4:5], off
	s_or_b32 s13, vcc_lo, s13
	s_andn2_b32 exec_lo, exec_lo, s13
	s_cbranch_execz .LBB30_28
.LBB30_25:                              ; =>This Loop Header: Depth=1
                                        ;     Child Loop BB30_27 Depth 2
	v_ashrrev_i32_e32 v2, 31, v1
	v_lshlrev_b64 v[6:7], 3, v[1:2]
	v_add_co_u32 v2, vcc_lo, s6, v6
	v_add_co_ci_u32_e64 v3, null, s7, v7, vcc_lo
	s_andn2_b32 vcc_lo, exec_lo, s29
	global_load_dwordx2 v[4:5], v[2:3], off
	s_cbranch_vccnz .LBB30_24
; %bb.26:                               ;   in Loop: Header=BB30_25 Depth=1
	v_add_co_u32 v6, vcc_lo, s31, v6
	v_add_co_ci_u32_e64 v7, null, s33, v7, vcc_lo
	s_mov_b32 s0, s28
	s_mov_b64 s[26:27], s[14:15]
	.p2align	6
.LBB30_27:                              ;   Parent Loop BB30_25 Depth=1
                                        ; =>  This Inner Loop Header: Depth=2
	v_add_co_u32 v9, vcc_lo, v6, s10
	v_add_co_ci_u32_e64 v10, null, s11, v7, vcc_lo
	s_add_u32 s34, s26, s16
	s_addc_u32 s35, s27, s17
	global_load_dwordx2 v[11:12], v[9:10], off offset:-4
	s_clause 0x1
	global_load_dword v15, v8, s[34:35]
	global_load_dword v16, v8, s[26:27]
	s_add_u32 s26, s26, 4
	s_addc_u32 s27, s27, 0
	s_add_i32 s0, s0, -1
	s_cmp_lg_u32 s0, 0
	s_waitcnt vmcnt(1)
	v_mul_f32_e32 v13, v11, v15
	v_mul_f32_e32 v14, v12, v15
	s_waitcnt vmcnt(0)
	v_fma_f32 v13, v4, v16, -v13
	v_fma_f32 v14, v5, v16, -v14
	v_mul_f32_e32 v4, v4, v15
	v_mul_f32_e32 v5, v5, v15
	global_store_dwordx2 v[6:7], v[13:14], off offset:-4
	v_mov_b32_e32 v6, v9
	v_fmac_f32_e32 v4, v11, v16
	v_fmac_f32_e32 v5, v12, v16
	v_mov_b32_e32 v7, v10
	s_cbranch_scc1 .LBB30_27
	s_branch .LBB30_24
.LBB30_28:
	s_or_b32 exec_lo, exec_lo, s23
	s_mov_b32 s0, exec_lo
	v_cmpx_gt_i32_e64 s22, v0
	s_cbranch_execz .LBB30_34
; %bb.29:
	s_load_dword s0, s[4:5], 0x8c
	s_add_i32 s4, s20, -1
	s_cmp_gt_i32 s20, 1
	v_mul_lo_u32 v1, v0, s1
	s_cselect_b32 s14, -1, 0
	s_lshl_b64 s[6:7], s[8:9], 2
	s_ashr_i32 s5, s4, 31
	v_mov_b32_e32 v9, 0
	s_mov_b32 s21, 0
	s_waitcnt lgkmcnt(0)
	s_and_b32 s15, s0, 0xffff
	s_add_u32 s0, s24, s6
	s_addc_u32 s7, s25, s7
	s_add_u32 s6, s0, 16
	s_mul_i32 s16, s1, s15
	s_addc_u32 s7, s7, 0
	s_lshl_b64 s[8:9], s[20:21], 2
	s_lshl_b64 s[10:11], s[4:5], 3
	s_branch .LBB30_31
.LBB30_30:                              ;   in Loop: Header=BB30_31 Depth=1
	v_add_nc_u32_e32 v0, s15, v0
	v_add_co_u32 v2, s0, v3, s10
	v_add_co_ci_u32_e64 v3, null, s11, v4, s0
	v_cmp_le_i32_e32 vcc_lo, s22, v0
	v_add_nc_u32_e32 v1, s16, v1
	s_waitcnt vmcnt(0)
	global_store_dwordx2 v[2:3], v[5:6], off
	s_or_b32 s21, vcc_lo, s21
	s_andn2_b32 exec_lo, exec_lo, s21
	s_cbranch_execz .LBB30_34
.LBB30_31:                              ; =>This Loop Header: Depth=1
                                        ;     Child Loop BB30_33 Depth 2
	v_mul_lo_u32 v2, v0, s1
	v_ashrrev_i32_e32 v3, 31, v2
	v_lshlrev_b64 v[3:4], 3, v[2:3]
	v_add_co_u32 v3, vcc_lo, s2, v3
	v_add_co_ci_u32_e64 v4, null, s3, v4, vcc_lo
	s_andn2_b32 vcc_lo, exec_lo, s14
	global_load_dwordx2 v[5:6], v[3:4], off
	s_cbranch_vccnz .LBB30_30
; %bb.32:                               ;   in Loop: Header=BB30_31 Depth=1
	v_ashrrev_i32_e32 v2, 31, v1
	s_mov_b32 s0, s4
	s_mov_b64 s[12:13], s[6:7]
	v_lshlrev_b64 v[7:8], 3, v[1:2]
	v_add_co_u32 v7, vcc_lo, s2, v7
	v_add_co_ci_u32_e64 v8, null, s3, v8, vcc_lo
	.p2align	6
.LBB30_33:                              ;   Parent Loop BB30_31 Depth=1
                                        ; =>  This Inner Loop Header: Depth=2
	s_add_u32 s18, s12, s8
	s_addc_u32 s19, s13, s9
	global_load_dwordx2 v[10:11], v[7:8], off offset:8
	s_clause 0x1
	global_load_dword v2, v9, s[12:13]
	global_load_dword v16, v9, s[18:19]
	v_add_co_u32 v12, vcc_lo, v7, 8
	v_add_co_ci_u32_e64 v13, null, 0, v8, vcc_lo
	s_add_u32 s12, s12, 4
	s_addc_u32 s13, s13, 0
	s_add_i32 s0, s0, -1
	s_cmp_lg_u32 s0, 0
	s_waitcnt vmcnt(0)
	v_mul_f32_e32 v14, v10, v16
	v_mul_f32_e32 v15, v11, v16
	v_fma_f32 v14, v5, v2, -v14
	v_fma_f32 v15, v6, v2, -v15
	v_mul_f32_e32 v5, v5, v16
	v_mul_f32_e32 v6, v6, v16
	global_store_dwordx2 v[7:8], v[14:15], off
	v_mov_b32_e32 v7, v12
	v_fmac_f32_e32 v5, v10, v2
	v_fmac_f32_e32 v6, v11, v2
	v_mov_b32_e32 v8, v13
	s_cbranch_scc1 .LBB30_33
	s_branch .LBB30_30
.LBB30_34:
	s_endpgm
	.section	.rodata,"a",@progbits
	.p2align	6, 0x0
	.amdhsa_kernel _ZN9rocsolver6v33100L17bdsqr_lower2upperI19rocblas_complex_numIfEfPS3_S4_EEviiiPT0_lS6_lT1_iilT2_iilPiS6_lS9_
		.amdhsa_group_segment_fixed_size 0
		.amdhsa_private_segment_fixed_size 0
		.amdhsa_kernarg_size 384
		.amdhsa_user_sgpr_count 6
		.amdhsa_user_sgpr_private_segment_buffer 1
		.amdhsa_user_sgpr_dispatch_ptr 0
		.amdhsa_user_sgpr_queue_ptr 0
		.amdhsa_user_sgpr_kernarg_segment_ptr 1
		.amdhsa_user_sgpr_dispatch_id 0
		.amdhsa_user_sgpr_flat_scratch_init 0
		.amdhsa_user_sgpr_private_segment_size 0
		.amdhsa_wavefront_size32 1
		.amdhsa_uses_dynamic_stack 0
		.amdhsa_system_sgpr_private_segment_wavefront_offset 0
		.amdhsa_system_sgpr_workgroup_id_x 1
		.amdhsa_system_sgpr_workgroup_id_y 1
		.amdhsa_system_sgpr_workgroup_id_z 0
		.amdhsa_system_sgpr_workgroup_info 0
		.amdhsa_system_vgpr_workitem_id 0
		.amdhsa_next_free_vgpr 17
		.amdhsa_next_free_sgpr 36
		.amdhsa_reserve_vcc 1
		.amdhsa_reserve_flat_scratch 0
		.amdhsa_float_round_mode_32 0
		.amdhsa_float_round_mode_16_64 0
		.amdhsa_float_denorm_mode_32 3
		.amdhsa_float_denorm_mode_16_64 3
		.amdhsa_dx10_clamp 1
		.amdhsa_ieee_mode 1
		.amdhsa_fp16_overflow 0
		.amdhsa_workgroup_processor_mode 1
		.amdhsa_memory_ordered 1
		.amdhsa_forward_progress 1
		.amdhsa_shared_vgpr_count 0
		.amdhsa_exception_fp_ieee_invalid_op 0
		.amdhsa_exception_fp_denorm_src 0
		.amdhsa_exception_fp_ieee_div_zero 0
		.amdhsa_exception_fp_ieee_overflow 0
		.amdhsa_exception_fp_ieee_underflow 0
		.amdhsa_exception_fp_ieee_inexact 0
		.amdhsa_exception_int_div_zero 0
	.end_amdhsa_kernel
	.section	.text._ZN9rocsolver6v33100L17bdsqr_lower2upperI19rocblas_complex_numIfEfPS3_S4_EEviiiPT0_lS6_lT1_iilT2_iilPiS6_lS9_,"axG",@progbits,_ZN9rocsolver6v33100L17bdsqr_lower2upperI19rocblas_complex_numIfEfPS3_S4_EEviiiPT0_lS6_lT1_iilT2_iilPiS6_lS9_,comdat
.Lfunc_end30:
	.size	_ZN9rocsolver6v33100L17bdsqr_lower2upperI19rocblas_complex_numIfEfPS3_S4_EEviiiPT0_lS6_lT1_iilT2_iilPiS6_lS9_, .Lfunc_end30-_ZN9rocsolver6v33100L17bdsqr_lower2upperI19rocblas_complex_numIfEfPS3_S4_EEviiiPT0_lS6_lT1_iilT2_iilPiS6_lS9_
                                        ; -- End function
	.set _ZN9rocsolver6v33100L17bdsqr_lower2upperI19rocblas_complex_numIfEfPS3_S4_EEviiiPT0_lS6_lT1_iilT2_iilPiS6_lS9_.num_vgpr, 17
	.set _ZN9rocsolver6v33100L17bdsqr_lower2upperI19rocblas_complex_numIfEfPS3_S4_EEviiiPT0_lS6_lT1_iilT2_iilPiS6_lS9_.num_agpr, 0
	.set _ZN9rocsolver6v33100L17bdsqr_lower2upperI19rocblas_complex_numIfEfPS3_S4_EEviiiPT0_lS6_lT1_iilT2_iilPiS6_lS9_.numbered_sgpr, 36
	.set _ZN9rocsolver6v33100L17bdsqr_lower2upperI19rocblas_complex_numIfEfPS3_S4_EEviiiPT0_lS6_lT1_iilT2_iilPiS6_lS9_.num_named_barrier, 0
	.set _ZN9rocsolver6v33100L17bdsqr_lower2upperI19rocblas_complex_numIfEfPS3_S4_EEviiiPT0_lS6_lT1_iilT2_iilPiS6_lS9_.private_seg_size, 0
	.set _ZN9rocsolver6v33100L17bdsqr_lower2upperI19rocblas_complex_numIfEfPS3_S4_EEviiiPT0_lS6_lT1_iilT2_iilPiS6_lS9_.uses_vcc, 1
	.set _ZN9rocsolver6v33100L17bdsqr_lower2upperI19rocblas_complex_numIfEfPS3_S4_EEviiiPT0_lS6_lT1_iilT2_iilPiS6_lS9_.uses_flat_scratch, 0
	.set _ZN9rocsolver6v33100L17bdsqr_lower2upperI19rocblas_complex_numIfEfPS3_S4_EEviiiPT0_lS6_lT1_iilT2_iilPiS6_lS9_.has_dyn_sized_stack, 0
	.set _ZN9rocsolver6v33100L17bdsqr_lower2upperI19rocblas_complex_numIfEfPS3_S4_EEviiiPT0_lS6_lT1_iilT2_iilPiS6_lS9_.has_recursion, 0
	.set _ZN9rocsolver6v33100L17bdsqr_lower2upperI19rocblas_complex_numIfEfPS3_S4_EEviiiPT0_lS6_lT1_iilT2_iilPiS6_lS9_.has_indirect_call, 0
	.section	.AMDGPU.csdata,"",@progbits
; Kernel info:
; codeLenInByte = 2124
; TotalNumSgprs: 38
; NumVgprs: 17
; ScratchSize: 0
; MemoryBound: 0
; FloatMode: 240
; IeeeMode: 1
; LDSByteSize: 0 bytes/workgroup (compile time only)
; SGPRBlocks: 0
; VGPRBlocks: 2
; NumSGPRsForWavesPerEU: 38
; NumVGPRsForWavesPerEU: 17
; Occupancy: 16
; WaveLimiterHint : 0
; COMPUTE_PGM_RSRC2:SCRATCH_EN: 0
; COMPUTE_PGM_RSRC2:USER_SGPR: 6
; COMPUTE_PGM_RSRC2:TRAP_HANDLER: 0
; COMPUTE_PGM_RSRC2:TGID_X_EN: 1
; COMPUTE_PGM_RSRC2:TGID_Y_EN: 1
; COMPUTE_PGM_RSRC2:TGID_Z_EN: 0
; COMPUTE_PGM_RSRC2:TIDIG_COMP_CNT: 0
	.section	.text._ZN9rocsolver6v33100L13bdsqr_computeILi256E19rocblas_complex_numIfEfPS3_S4_S4_EEviiiiPT1_lS6_lT2_iilT3_iilT4_iiliS5_S5_S5_S5_PiS6_ilSA_,"axG",@progbits,_ZN9rocsolver6v33100L13bdsqr_computeILi256E19rocblas_complex_numIfEfPS3_S4_S4_EEviiiiPT1_lS6_lT2_iilT3_iilT4_iiliS5_S5_S5_S5_PiS6_ilSA_,comdat
	.globl	_ZN9rocsolver6v33100L13bdsqr_computeILi256E19rocblas_complex_numIfEfPS3_S4_S4_EEviiiiPT1_lS6_lT2_iilT3_iilT4_iiliS5_S5_S5_S5_PiS6_ilSA_ ; -- Begin function _ZN9rocsolver6v33100L13bdsqr_computeILi256E19rocblas_complex_numIfEfPS3_S4_S4_EEviiiiPT1_lS6_lT2_iilT3_iilT4_iiliS5_S5_S5_S5_PiS6_ilSA_
	.p2align	8
	.type	_ZN9rocsolver6v33100L13bdsqr_computeILi256E19rocblas_complex_numIfEfPS3_S4_S4_EEviiiiPT1_lS6_lT2_iilT3_iilT4_iiliS5_S5_S5_S5_PiS6_ilSA_,@function
_ZN9rocsolver6v33100L13bdsqr_computeILi256E19rocblas_complex_numIfEfPS3_S4_S4_EEviiiiPT1_lS6_lT2_iilT3_iilT4_iiliS5_S5_S5_S5_PiS6_ilSA_: ; @_ZN9rocsolver6v33100L13bdsqr_computeILi256E19rocblas_complex_numIfEfPS3_S4_S4_EEviiiiPT1_lS6_lT2_iilT3_iilT4_iiliS5_S5_S5_S5_PiS6_ilSA_
; %bb.0:
	s_load_dwordx4 s[0:3], s[4:5], 0xa8
	s_ashr_i32 s9, s8, 31
	s_lshl_b64 s[10:11], s[8:9], 2
	s_waitcnt lgkmcnt(0)
	s_add_u32 s2, s2, s10
	s_addc_u32 s3, s3, s11
	s_load_dword s2, s[2:3], 0x8
	s_waitcnt lgkmcnt(0)
	s_cmp_lg_u32 s2, 0
	s_cbranch_scc1 .LBB31_171
; %bb.1:
	s_load_dwordx8 s[12:19], s[4:5], 0x30
	s_mov_b64 s[10:11], 0
	s_mov_b64 s[34:35], 0
	s_waitcnt lgkmcnt(0)
	s_cmp_eq_u64 s[12:13], 0
	s_cbranch_scc1 .LBB31_3
; %bb.2:
	s_mul_i32 s2, s16, s9
	s_mul_hi_u32 s3, s16, s8
	s_mul_i32 s6, s17, s8
	s_add_i32 s2, s3, s2
	s_ashr_i32 s17, s14, 31
	s_add_i32 s3, s2, s6
	s_mul_i32 s2, s16, s8
	s_mov_b32 s16, s14
	s_lshl_b64 s[2:3], s[2:3], 3
	s_add_u32 s6, s12, s2
	s_addc_u32 s12, s13, s3
	s_lshl_b64 s[2:3], s[16:17], 3
	s_add_u32 s34, s6, s2
	s_addc_u32 s35, s12, s3
.LBB31_3:
	s_clause 0x1
	s_load_dwordx2 s[12:13], s[4:5], 0x50
	s_load_dwordx4 s[20:23], s[4:5], 0x58
	s_cmp_eq_u64 s[18:19], 0
	s_cbranch_scc1 .LBB31_5
; %bb.4:
	s_waitcnt lgkmcnt(0)
	s_mul_i32 s2, s20, s9
	s_mul_hi_u32 s3, s20, s8
	s_mul_i32 s6, s21, s8
	s_add_i32 s2, s3, s2
	s_ashr_i32 s11, s12, 31
	s_add_i32 s3, s2, s6
	s_mul_i32 s2, s20, s8
	s_mov_b32 s10, s12
	s_lshl_b64 s[2:3], s[2:3], 3
	s_add_u32 s6, s18, s2
	s_addc_u32 s12, s19, s3
	s_lshl_b64 s[2:3], s[10:11], 3
	s_add_u32 s10, s6, s2
	s_addc_u32 s11, s12, s3
.LBB31_5:
	s_load_dwordx2 s[36:37], s[4:5], 0x68
	s_waitcnt lgkmcnt(0)
	s_cmp_eq_u64 s[22:23], 0
	s_mov_b64 s[38:39], 0
	s_cbranch_scc1 .LBB31_7
; %bb.6:
	s_load_dwordx2 s[2:3], s[4:5], 0x70
	s_ashr_i32 s17, s36, 31
	s_mov_b32 s16, s36
	s_waitcnt lgkmcnt(0)
	s_mul_i32 s6, s2, s9
	s_mul_hi_u32 s12, s2, s8
	s_mul_i32 s3, s3, s8
	s_add_i32 s6, s12, s6
	s_mul_i32 s2, s2, s8
	s_add_i32 s3, s6, s3
	s_lshl_b64 s[2:3], s[2:3], 3
	s_add_u32 s6, s22, s2
	s_addc_u32 s12, s23, s3
	s_lshl_b64 s[2:3], s[16:17], 3
	s_add_u32 s38, s6, s2
	s_addc_u32 s39, s12, s3
.LBB31_7:
	s_load_dwordx4 s[28:31], s[4:5], 0x90
	s_mul_i32 s2, s0, s9
	s_mul_hi_u32 s3, s0, s8
	s_mul_i32 s1, s1, s8
	s_add_i32 s2, s3, s2
	s_mul_i32 s0, s0, s8
	s_add_i32 s1, s2, s1
	s_lshl_b64 s[42:43], s[0:1], 2
	s_waitcnt lgkmcnt(0)
	s_add_u32 s40, s30, s42
	s_addc_u32 s41, s31, s43
	s_load_dword s0, s[40:41], 0x8
	s_waitcnt lgkmcnt(0)
	v_cvt_i32_f32_e32 v11, s0
	v_cmp_ge_i32_e32 vcc_lo, s7, v11
	s_cbranch_vccnz .LBB31_171
; %bb.8:
	s_clause 0x1
	s_load_dwordx4 s[24:27], s[4:5], 0x0
	s_load_dwordx8 s[16:23], s[4:5], 0x10
	v_lshlrev_b32_e32 v12, 2, v0
                                        ; implicit-def: $vgpr28 : SGPR spill to VGPR lane
	v_mul_lo_u32 v14, v0, s15
	v_mul_lo_u32 v15, v0, s37
	v_mov_b32_e32 v13, 0
	v_mov_b32_e32 v20, 1
	s_waitcnt lgkmcnt(0)
	s_mul_i32 s0, s8, s24
	s_mul_i32 s3, s18, s9
	s_lshl_b32 s0, s0, 1
	s_mul_hi_u32 s6, s18, s8
	s_ashr_i32 s1, s0, 31
	s_mul_i32 s19, s19, s8
	s_lshl_b64 s[0:1], s[0:1], 2
	s_mul_i32 s2, s18, s8
	s_add_u32 s12, s28, s0
	s_addc_u32 s14, s29, s1
	s_add_i32 s0, s6, s3
	s_mul_i32 s6, s22, s9
	s_add_i32 s3, s0, s19
	s_mul_hi_u32 s9, s22, s8
	s_lshl_b64 s[0:1], s[2:3], 2
	s_mul_i32 s2, s23, s8
	s_add_u32 s24, s16, s0
	s_addc_u32 s33, s17, s1
	s_add_i32 s0, s9, s6
	s_mul_i32 s16, s22, s8
	s_add_i32 s17, s0, s2
	v_add_co_u32 v16, s9, s24, v12
	s_lshl_b64 s[2:3], s[16:17], 2
	v_add_co_ci_u32_e64 v17, null, s33, 0, s9
	s_add_u32 s36, s20, s2
	s_addc_u32 s72, s21, s3
	s_cmp_lg_u32 s25, 0
	s_clause 0x3
	s_load_dwordx2 s[18:19], s[4:5], 0x78
	s_load_dwordx2 s[22:23], s[4:5], 0x84
	s_load_dword s74, s[4:5], 0xa0
	s_load_dword s75, s[4:5], 0xbc
	s_cselect_b32 s73, -1, 0
	s_or_b32 s6, s27, s26
	v_add_co_u32 v18, s44, s36, v12
	s_cmp_eq_u32 s6, 0
	v_cmp_gt_u32_e64 s0, 0x80, v0
	s_cselect_b32 s76, -1, 0
	s_cmp_lg_u64 s[34:35], 0
	v_cmp_gt_u32_e64 s1, 64, v0
	s_cselect_b32 s6, -1, 0
	v_cmp_gt_u32_e64 s2, 32, v0
	s_and_b32 s77, s73, s6
	s_add_u32 s28, s4, 0xb8
	s_addc_u32 s29, s5, 0
	s_cmp_lg_u64 s[10:11], 0
	v_cmp_eq_u32_e64 s3, 0, v0
	s_cselect_b32 s6, -1, 0
	s_cmp_lg_u32 s26, 0
	v_cmp_gt_i32_e64 s4, s25, v0
	s_cselect_b32 s8, -1, 0
	v_cmp_gt_i32_e64 s5, s26, v0
	s_and_b32 s78, s8, s6
	s_cmp_lg_u64 s[38:39], 0
	v_cmp_gt_i32_e64 s6, s27, v0
	s_cselect_b32 s8, -1, 0
	s_cmp_lg_u32 s27, 0
	v_add_co_ci_u32_e64 v19, null, s72, 0, s44
	s_cselect_b32 s9, -1, 0
	s_and_b32 s79, s9, s8
	s_add_u32 s8, s24, -4
	v_writelane_b32 v28, s8, 0
	s_addc_u32 s8, s33, -1
	s_add_u32 s82, s30, s42
	s_addc_u32 s83, s31, s43
	s_add_u32 s84, s82, 12
	v_writelane_b32 v28, s8, 1
	s_addc_u32 s85, s83, 0
	s_add_u32 s8, s20, -4
	v_writelane_b32 v28, s8, 2
	s_addc_u32 s8, s21, -1
	v_writelane_b32 v28, s8, 3
	s_add_u32 s8, s36, -4
	v_writelane_b32 v28, s8, 4
	s_addc_u32 s8, s72, -1
	v_writelane_b32 v28, s8, 5
	s_add_u32 s8, s34, 4
	v_writelane_b32 v28, s8, 6
	s_addc_u32 s8, s35, 0
	s_add_u32 s92, s38, 4
	s_addc_u32 s93, s39, 0
	v_writelane_b32 v28, s8, 7
	s_branch .LBB31_11
.LBB31_9:                               ;   in Loop: Header=BB31_11 Depth=1
	s_or_b32 exec_lo, exec_lo, s9
.LBB31_10:                              ;   in Loop: Header=BB31_11 Depth=1
	s_waitcnt lgkmcnt(0)
	s_add_i32 s7, s75, s7
	v_cmp_lt_i32_e32 vcc_lo, s7, v11
	s_cbranch_vccz .LBB31_171
.LBB31_11:                              ; =>This Loop Header: Depth=1
                                        ;     Child Loop BB31_15 Depth 2
                                        ;     Child Loop BB31_40 Depth 2
	;; [unrolled: 1-line block ×5, first 2 shown]
                                        ;       Child Loop BB31_155 Depth 3
                                        ;     Child Loop BB31_160 Depth 2
                                        ;       Child Loop BB31_161 Depth 3
                                        ;     Child Loop BB31_166 Depth 2
                                        ;       Child Loop BB31_167 Depth 3
	s_lshl_b32 s8, s7, 2
	s_ashr_i32 s9, s8, 31
	s_lshl_b64 s[8:9], s[8:9], 2
	s_add_u32 s48, s12, s8
	s_addc_u32 s49, s14, s9
	global_load_dwordx2 v[1:2], v13, s[48:49] offset:4
	s_waitcnt vmcnt(0)
	v_readfirstlane_b32 s30, v2
	v_readfirstlane_b32 s42, v1
	s_cmp_le_i32 s30, s42
	s_cbranch_scc1 .LBB31_10
; %bb.12:                               ;   in Loop: Header=BB31_11 Depth=1
	global_load_dword v1, v13, s[48:49] offset:12
	s_waitcnt vmcnt(0) lgkmcnt(0)
	v_cmp_le_i32_e32 vcc_lo, s18, v1
	s_cbranch_vccnz .LBB31_10
; %bb.13:                               ;   in Loop: Header=BB31_11 Depth=1
	v_mov_b32_e32 v3, 0
	s_sub_i32 s20, s30, s42
	s_ashr_i32 s43, s42, 31
	s_mov_b32 s9, exec_lo
	v_cmpx_ge_i32_e64 s20, v0
	s_cbranch_execz .LBB31_17
; %bb.14:                               ;   in Loop: Header=BB31_11 Depth=1
	s_lshl_b64 s[44:45], s[42:43], 2
	v_mov_b32_e32 v3, 0
	v_add_co_u32 v1, vcc_lo, v16, s44
	v_add_co_ci_u32_e64 v2, null, s45, v17, vcc_lo
	v_mov_b32_e32 v4, v0
	s_mov_b32 s21, 0
	.p2align	6
.LBB31_15:                              ;   Parent Loop BB31_11 Depth=1
                                        ; =>  This Inner Loop Header: Depth=2
	global_load_dword v5, v[1:2], off
	v_add_nc_u32_e32 v4, 0x100, v4
	v_add_co_u32 v1, vcc_lo, 0x400, v1
	v_add_co_ci_u32_e64 v2, null, 0, v2, vcc_lo
	v_cmp_lt_i32_e64 s8, s20, v4
	s_or_b32 s21, s8, s21
	s_waitcnt vmcnt(0)
	v_cmp_lt_f32_e64 s31, v3, |v5|
	v_cndmask_b32_e64 v3, v3, |v5|, s31
	s_andn2_b32 exec_lo, exec_lo, s21
	s_cbranch_execnz .LBB31_15
; %bb.16:                               ;   in Loop: Header=BB31_11 Depth=1
	s_or_b32 exec_lo, exec_lo, s21
.LBB31_17:                              ;   in Loop: Header=BB31_11 Depth=1
	s_or_b32 exec_lo, exec_lo, s9
	ds_write_b32 v12, v3
	s_waitcnt lgkmcnt(0)
	s_barrier
	buffer_gl0_inv
	s_and_saveexec_b32 s8, s0
	s_cbranch_execz .LBB31_21
; %bb.18:                               ;   in Loop: Header=BB31_11 Depth=1
	ds_read_b32 v1, v12 offset:512
	s_mov_b32 s9, exec_lo
	s_waitcnt lgkmcnt(0)
	v_cmpx_lt_f32_e32 v3, v1
; %bb.19:                               ;   in Loop: Header=BB31_11 Depth=1
	v_mov_b32_e32 v3, v1
	ds_write_b32 v12, v1
; %bb.20:                               ;   in Loop: Header=BB31_11 Depth=1
	s_or_b32 exec_lo, exec_lo, s9
.LBB31_21:                              ;   in Loop: Header=BB31_11 Depth=1
	s_or_b32 exec_lo, exec_lo, s8
	s_waitcnt lgkmcnt(0)
	s_barrier
	buffer_gl0_inv
	s_and_saveexec_b32 s8, s1
	s_cbranch_execz .LBB31_25
; %bb.22:                               ;   in Loop: Header=BB31_11 Depth=1
	ds_read_b32 v1, v12 offset:256
	s_mov_b32 s9, exec_lo
	s_waitcnt lgkmcnt(0)
	v_cmpx_lt_f32_e32 v3, v1
; %bb.23:                               ;   in Loop: Header=BB31_11 Depth=1
	v_mov_b32_e32 v3, v1
	ds_write_b32 v12, v1
; %bb.24:                               ;   in Loop: Header=BB31_11 Depth=1
	s_or_b32 exec_lo, exec_lo, s9
.LBB31_25:                              ;   in Loop: Header=BB31_11 Depth=1
	s_or_b32 exec_lo, exec_lo, s8
	s_waitcnt lgkmcnt(0)
	s_barrier
	buffer_gl0_inv
	s_and_saveexec_b32 s8, s2
	s_cbranch_execz .LBB31_38
; %bb.26:                               ;   in Loop: Header=BB31_11 Depth=1
	ds_read_b32 v1, v12 offset:128
	s_mov_b32 s9, exec_lo
	s_waitcnt lgkmcnt(0)
	v_cmpx_lt_f32_e32 v3, v1
; %bb.27:                               ;   in Loop: Header=BB31_11 Depth=1
	v_mov_b32_e32 v3, v1
	ds_write_b32 v12, v1
; %bb.28:                               ;   in Loop: Header=BB31_11 Depth=1
	s_or_b32 exec_lo, exec_lo, s9
	ds_read_b32 v1, v12 offset:64
	s_mov_b32 s9, exec_lo
	s_waitcnt lgkmcnt(0)
	v_cmpx_lt_f32_e32 v3, v1
; %bb.29:                               ;   in Loop: Header=BB31_11 Depth=1
	v_mov_b32_e32 v3, v1
	ds_write_b32 v12, v1
; %bb.30:                               ;   in Loop: Header=BB31_11 Depth=1
	s_or_b32 exec_lo, exec_lo, s9
	;; [unrolled: 9-line block ×5, first 2 shown]
	ds_read_b32 v1, v12 offset:4
	s_waitcnt lgkmcnt(0)
	v_cmp_lt_f32_e32 vcc_lo, v3, v1
	s_and_b32 exec_lo, exec_lo, vcc_lo
; %bb.37:                               ;   in Loop: Header=BB31_11 Depth=1
	ds_write_b32 v12, v1
.LBB31_38:                              ;   in Loop: Header=BB31_11 Depth=1
	s_or_b32 exec_lo, exec_lo, s8
	v_mov_b32_e32 v3, 0
	s_mov_b32 s9, exec_lo
	s_waitcnt lgkmcnt(0)
	s_barrier
	buffer_gl0_inv
	v_cmpx_gt_i32_e64 s20, v0
	s_cbranch_execz .LBB31_42
; %bb.39:                               ;   in Loop: Header=BB31_11 Depth=1
	s_lshl_b64 s[44:45], s[42:43], 2
	v_mov_b32_e32 v3, 0
	v_add_co_u32 v1, vcc_lo, v18, s44
	v_add_co_ci_u32_e64 v2, null, s45, v19, vcc_lo
	v_mov_b32_e32 v4, v0
	s_mov_b32 s21, 0
	.p2align	6
.LBB31_40:                              ;   Parent Loop BB31_11 Depth=1
                                        ; =>  This Inner Loop Header: Depth=2
	global_load_dword v5, v[1:2], off
	v_add_nc_u32_e32 v4, 0x100, v4
	v_add_co_u32 v1, vcc_lo, 0x400, v1
	v_add_co_ci_u32_e64 v2, null, 0, v2, vcc_lo
	v_cmp_le_i32_e64 s8, s20, v4
	s_or_b32 s21, s8, s21
	s_waitcnt vmcnt(0)
	v_cmp_lt_f32_e64 s31, v3, |v5|
	v_cndmask_b32_e64 v3, v3, |v5|, s31
	s_andn2_b32 exec_lo, exec_lo, s21
	s_cbranch_execnz .LBB31_40
; %bb.41:                               ;   in Loop: Header=BB31_11 Depth=1
	s_or_b32 exec_lo, exec_lo, s21
.LBB31_42:                              ;   in Loop: Header=BB31_11 Depth=1
	s_or_b32 exec_lo, exec_lo, s9
	s_cmp_lt_i32 s20, 2
	ds_write_b32 v12, v3 offset:4
	s_waitcnt lgkmcnt(0)
	s_barrier
	buffer_gl0_inv
	s_cbranch_scc1 .LBB31_65
; %bb.43:                               ;   in Loop: Header=BB31_11 Depth=1
	s_and_saveexec_b32 s8, s0
	s_cbranch_execz .LBB31_47
; %bb.44:                               ;   in Loop: Header=BB31_11 Depth=1
	ds_read_b32 v1, v12 offset:516
	s_mov_b32 s9, exec_lo
	s_waitcnt lgkmcnt(0)
	v_cmpx_lt_f32_e32 v3, v1
; %bb.45:                               ;   in Loop: Header=BB31_11 Depth=1
	v_mov_b32_e32 v3, v1
	ds_write_b32 v12, v1 offset:4
; %bb.46:                               ;   in Loop: Header=BB31_11 Depth=1
	s_or_b32 exec_lo, exec_lo, s9
.LBB31_47:                              ;   in Loop: Header=BB31_11 Depth=1
	s_or_b32 exec_lo, exec_lo, s8
	s_waitcnt lgkmcnt(0)
	s_barrier
	buffer_gl0_inv
	s_and_saveexec_b32 s8, s1
	s_cbranch_execz .LBB31_51
; %bb.48:                               ;   in Loop: Header=BB31_11 Depth=1
	ds_read_b32 v1, v12 offset:260
	s_mov_b32 s9, exec_lo
	s_waitcnt lgkmcnt(0)
	v_cmpx_lt_f32_e32 v3, v1
; %bb.49:                               ;   in Loop: Header=BB31_11 Depth=1
	v_mov_b32_e32 v3, v1
	ds_write_b32 v12, v1 offset:4
; %bb.50:                               ;   in Loop: Header=BB31_11 Depth=1
	s_or_b32 exec_lo, exec_lo, s9
.LBB31_51:                              ;   in Loop: Header=BB31_11 Depth=1
	s_or_b32 exec_lo, exec_lo, s8
	s_waitcnt lgkmcnt(0)
	s_barrier
	buffer_gl0_inv
	s_and_saveexec_b32 s8, s2
	s_cbranch_execz .LBB31_64
; %bb.52:                               ;   in Loop: Header=BB31_11 Depth=1
	ds_read_b32 v1, v12 offset:132
	s_mov_b32 s9, exec_lo
	s_waitcnt lgkmcnt(0)
	v_cmpx_lt_f32_e32 v3, v1
; %bb.53:                               ;   in Loop: Header=BB31_11 Depth=1
	v_mov_b32_e32 v3, v1
	ds_write_b32 v12, v1 offset:4
; %bb.54:                               ;   in Loop: Header=BB31_11 Depth=1
	s_or_b32 exec_lo, exec_lo, s9
	ds_read_b32 v1, v12 offset:68
	s_mov_b32 s9, exec_lo
	s_waitcnt lgkmcnt(0)
	v_cmpx_lt_f32_e32 v3, v1
; %bb.55:                               ;   in Loop: Header=BB31_11 Depth=1
	v_mov_b32_e32 v3, v1
	ds_write_b32 v12, v1 offset:4
; %bb.56:                               ;   in Loop: Header=BB31_11 Depth=1
	s_or_b32 exec_lo, exec_lo, s9
	;; [unrolled: 9-line block ×5, first 2 shown]
	ds_read_b32 v1, v12 offset:8
	s_waitcnt lgkmcnt(0)
	v_cmp_lt_f32_e32 vcc_lo, v3, v1
	s_and_b32 exec_lo, exec_lo, vcc_lo
; %bb.63:                               ;   in Loop: Header=BB31_11 Depth=1
	ds_write_b32 v12, v1 offset:4
.LBB31_64:                              ;   in Loop: Header=BB31_11 Depth=1
	s_or_b32 exec_lo, exec_lo, s8
.LBB31_65:                              ;   in Loop: Header=BB31_11 Depth=1
	s_lshl_b64 s[44:45], s[42:43], 2
	s_waitcnt lgkmcnt(0)
	s_add_u32 s9, s36, s44
	s_addc_u32 s94, s72, s45
	s_add_u32 s58, s24, s44
	s_addc_u32 s59, s33, s45
	s_barrier
	buffer_gl0_inv
	s_and_saveexec_b32 s50, s3
	s_cbranch_execz .LBB31_79
; %bb.66:                               ;   in Loop: Header=BB31_11 Depth=1
	s_ashr_i32 s31, s30, 31
	s_lshl_b64 s[46:47], s[30:31], 2
	s_add_u32 s46, s24, s46
	s_addc_u32 s47, s33, s47
	s_clause 0x1
	global_load_dword v1, v13, s[58:59]
	global_load_dword v2, v13, s[46:47]
	s_ashr_i32 s21, s20, 31
	s_lshl_b64 s[46:47], s[20:21], 2
	s_add_u32 s21, s58, s46
	s_addc_u32 s31, s59, s47
	s_waitcnt vmcnt(0)
	v_cmp_ge_f32_e64 s8, |v1|, |v2|
	v_and_b32_e32 v1, 0x7fffffff, v1
	v_and_b32_e32 v2, 0x7fffffff, v2
	s_and_b32 s46, s8, exec_lo
	s_cselect_b32 s47, s59, s31
	s_cselect_b32 s46, s58, s21
	v_cndmask_b32_e64 v5, 0, 1, s8
	global_load_dword v3, v13, s[46:47]
	s_not_b32 s21, s42
	s_mov_b32 s31, 0
	s_add_i32 s21, s21, s30
	ds_write_b32 v13, v5 offset:1028
	s_waitcnt vmcnt(0)
	v_and_b32_e32 v3, 0x7fffffff, v3
	v_mov_b32_e32 v4, v3
	s_branch .LBB31_68
.LBB31_67:                              ;   in Loop: Header=BB31_68 Depth=2
	s_add_i32 s31, s31, 1
	s_and_b32 s51, s8, exec_lo
	s_cselect_b32 s52, s31, s21
	v_add_f32_e64 v5, v4, |v5|
	s_ashr_i32 s53, s52, 31
	s_mov_b32 s51, 0
	s_lshl_b64 s[52:53], s[52:53], 2
	v_div_scale_f32 v7, null, v5, v5, v4
	s_add_u32 s52, s58, s52
	s_addc_u32 s53, s59, s53
	v_div_scale_f32 v10, vcc_lo, v4, v5, v4
	global_load_dword v6, v13, s[52:53]
	v_rcp_f32_e32 v8, v7
	s_add_i32 s21, s21, -1
	s_cmp_eq_u32 s21, -1
	s_cselect_b32 s52, -1, 0
	v_fma_f32 v9, -v7, v8, 1.0
	v_fmac_f32_e32 v8, v9, v8
	v_mul_f32_e32 v9, v10, v8
	v_fma_f32 v21, -v7, v9, v10
	v_fmac_f32_e32 v9, v21, v8
	v_fma_f32 v7, -v7, v9, v10
	v_div_fmas_f32 v7, v7, v8, v9
	v_div_fixup_f32 v4, v7, v5, v4
	s_waitcnt vmcnt(0)
	v_mul_f32_e64 v4, v4, |v6|
	v_cmp_lt_f32_e32 vcc_lo, v4, v3
	v_cndmask_b32_e32 v3, v3, v4, vcc_lo
	s_andn2_b32 vcc_lo, exec_lo, s52
	s_cbranch_vccz .LBB31_70
.LBB31_68:                              ;   Parent Loop BB31_11 Depth=1
                                        ; =>  This Inner Loop Header: Depth=2
	s_and_b32 s46, s8, exec_lo
	s_cselect_b32 s46, s31, s21
	v_mul_f32_e32 v6, s22, v4
	s_ashr_i32 s47, s46, 31
	s_lshl_b64 s[46:47], s[46:47], 2
	s_add_u32 s46, s9, s46
	s_addc_u32 s47, s94, s47
	global_load_dword v5, v13, s[46:47]
	s_waitcnt vmcnt(0)
	v_cmp_nle_f32_e64 s51, |v5|, v6
	s_and_b32 vcc_lo, exec_lo, s51
	s_cbranch_vccnz .LBB31_67
; %bb.69:                               ;   in Loop: Header=BB31_11 Depth=1
	s_mov_b32 s51, -1
                                        ; implicit-def: $vgpr4
                                        ; implicit-def: $sgpr21
                                        ; implicit-def: $sgpr31
                                        ; implicit-def: $vgpr3
.LBB31_70:                              ;   in Loop: Header=BB31_11 Depth=1
	s_and_b32 vcc_lo, exec_lo, s51
	s_cbranch_vccz .LBB31_72
; %bb.71:                               ;   in Loop: Header=BB31_11 Depth=1
	v_mov_b32_e32 v3, -1.0
	global_store_dword v13, v13, s[46:47]
.LBB31_72:                              ;   in Loop: Header=BB31_11 Depth=1
	v_cmp_nle_f32_e32 vcc_lo, 0, v3
	ds_write_b32 v13, v3 offset:1032
	ds_write_b8 v13, v13 offset:1036
	s_cbranch_vccnz .LBB31_79
; %bb.73:                               ;   in Loop: Header=BB31_11 Depth=1
	ds_read_b64 v[4:5], v13
	s_mov_b32 s21, -1
	s_waitcnt lgkmcnt(0)
	v_cmp_lt_f32_e32 vcc_lo, v4, v5
	v_cndmask_b32_e32 v4, v4, v5, vcc_lo
	v_div_scale_f32 v5, null, v4, v4, v3
	v_rcp_f32_e32 v6, v5
	v_fma_f32 v7, -v5, v6, 1.0
	v_fmac_f32_e32 v6, v7, v6
	v_div_scale_f32 v7, vcc_lo, v3, v4, v3
	v_mul_f32_e32 v8, v7, v6
	v_fma_f32 v9, -v5, v8, v7
	v_fmac_f32_e32 v8, v9, v6
	v_fma_f32 v5, -v5, v8, v7
	v_div_fmas_f32 v5, v5, v6, v8
	v_div_fixup_f32 v4, v5, v4, v3
	v_cmp_ge_f32_e32 vcc_lo, s23, v4
	s_cbranch_vccnz .LBB31_76
; %bb.74:                               ;   in Loop: Header=BB31_11 Depth=1
	v_cndmask_b32_e64 v1, v2, v1, s8
	s_mov_b32 s21, 0
	v_cmp_lt_f32_e32 vcc_lo, 0, v1
	s_cbranch_vccz .LBB31_76
; %bb.75:                               ;   in Loop: Header=BB31_11 Depth=1
	v_mul_f32_e32 v2, v3, v3
	v_div_scale_f32 v3, null, v1, v1, v2
	v_div_scale_f32 v6, vcc_lo, v2, v1, v2
	v_rcp_f32_e32 v4, v3
	v_fma_f32 v5, -v3, v4, 1.0
	v_fmac_f32_e32 v4, v5, v4
	v_mul_f32_e32 v5, v6, v4
	v_fma_f32 v7, -v3, v5, v6
	v_fmac_f32_e32 v5, v7, v4
	v_fma_f32 v3, -v3, v5, v6
	v_div_fmas_f32 v3, v3, v4, v5
	v_div_fixup_f32 v2, v3, v1, v2
	v_div_scale_f32 v3, null, v1, v1, v2
	v_rcp_f32_e32 v4, v3
	v_fma_f32 v5, -v3, v4, 1.0
	v_fmac_f32_e32 v4, v5, v4
	v_div_scale_f32 v5, vcc_lo, v2, v1, v2
	v_mul_f32_e32 v6, v5, v4
	v_fma_f32 v7, -v3, v6, v5
	v_fmac_f32_e32 v6, v7, v4
	v_fma_f32 v3, -v3, v6, v5
	v_div_fmas_f32 v3, v3, v4, v6
	v_div_fixup_f32 v1, v3, v1, v2
	v_cmp_gt_f32_e64 s21, s19, v1
.LBB31_76:                              ;   in Loop: Header=BB31_11 Depth=1
	s_and_b32 vcc_lo, exec_lo, s21
	s_cbranch_vccz .LBB31_78
; %bb.77:                               ;   in Loop: Header=BB31_11 Depth=1
	ds_write_b32 v13, v13 offset:1032
.LBB31_78:                              ;   in Loop: Header=BB31_11 Depth=1
	ds_write_b8 v13, v20 offset:1036
.LBB31_79:                              ;   in Loop: Header=BB31_11 Depth=1
	s_or_b32 exec_lo, exec_lo, s50
	s_waitcnt lgkmcnt(0)
	s_waitcnt_vscnt null, 0x0
	s_barrier
	buffer_gl0_inv
	ds_read_u8 v1, v13 offset:1036
	s_mov_b32 s8, -1
	s_waitcnt lgkmcnt(0)
	v_cmp_eq_u32_e32 vcc_lo, 0, v1
	s_cbranch_vccz .LBB31_83
; %bb.80:                               ;   in Loop: Header=BB31_11 Depth=1
	s_and_saveexec_b32 s8, s3
	s_cbranch_execz .LBB31_82
; %bb.81:                               ;   in Loop: Header=BB31_11 Depth=1
	global_store_dword v13, v13, s[48:49]
.LBB31_82:                              ;   in Loop: Header=BB31_11 Depth=1
	s_or_b32 exec_lo, exec_lo, s8
	s_mov_b32 s8, 0
.LBB31_83:                              ;   in Loop: Header=BB31_11 Depth=1
	s_andn2_b32 vcc_lo, exec_lo, s8
	s_cbranch_vccnz .LBB31_10
; %bb.84:                               ;   in Loop: Header=BB31_11 Depth=1
	ds_read_b32 v1, v13 offset:1028
	s_waitcnt lgkmcnt(0)
	v_readfirstlane_b32 s46, v1
	s_and_saveexec_b32 s8, s3
	s_cbranch_execz .LBB31_86
; %bb.85:                               ;   in Loop: Header=BB31_11 Depth=1
	s_cmp_eq_u32 s46, 0
	s_cselect_b32 s21, -1, 1
	v_mov_b32_e32 v1, s21
	global_store_dword v13, v1, s[48:49]
.LBB31_86:                              ;   in Loop: Header=BB31_11 Depth=1
	s_or_b32 exec_lo, exec_lo, s8
	s_add_i32 s54, s20, 1
	s_mul_i32 s48, s42, s74
	s_sub_i32 s52, 1, s46
	s_ashr_i32 s49, s48, 31
	s_sub_i32 s50, s46, s52
	s_lshl_b32 s8, s54, 1
	s_and_b32 s21, s73, exec_lo
	s_cselect_b32 s21, s8, 0
	s_and_saveexec_b32 s31, s3
	s_cbranch_execz .LBB31_149
; %bb.87:                               ;   in Loop: Header=BB31_11 Depth=1
	s_cmp_lg_u32 s46, 0
	v_mov_b32_e32 v5, 0
	s_cselect_b32 s95, -1, 0
	v_mov_b32_e32 v1, 0
	s_and_b32 s8, s95, exec_lo
	s_cselect_b32 s56, 0, s20
	s_ashr_i32 s57, s56, 31
	s_lshl_b64 s[60:61], s[56:57], 2
	s_add_u32 s60, s58, s60
	s_addc_u32 s61, s59, s61
	global_load_dword v3, v13, s[60:61]
	s_waitcnt vmcnt(0)
	v_cmp_eq_f32_e32 vcc_lo, 0, v3
	s_cbranch_vccnz .LBB31_89
; %bb.88:                               ;   in Loop: Header=BB31_11 Depth=1
	ds_read_b32 v1, v13 offset:1032
	v_cmp_lt_f32_e64 s8, 0, v3
	s_waitcnt lgkmcnt(0)
	v_div_scale_f32 v2, null, v3, v3, v1
	v_div_scale_f32 v7, vcc_lo, v1, v3, v1
	v_rcp_f32_e32 v4, v2
	v_fma_f32 v6, -v2, v4, 1.0
	v_fmac_f32_e32 v4, v6, v4
	v_mul_f32_e32 v6, v7, v4
	v_fma_f32 v8, -v2, v6, v7
	v_fmac_f32_e32 v6, v8, v4
	v_cndmask_b32_e64 v8, 0, 1, s8
	v_cmp_gt_f32_e64 s8, 0, v3
	v_fma_f32 v2, -v2, v6, v7
	v_subrev_co_ci_u32_e64 v7, null, 0, v8, s8
	v_div_fmas_f32 v2, v2, v4, v6
	v_cvt_f32_i32_e32 v4, v7
	v_div_fixup_f32 v2, v2, v3, v1
	v_sub_f32_e64 v1, |v3|, v1
	v_add_f32_e32 v2, v2, v4
	v_mul_f32_e32 v1, v1, v2
.LBB31_89:                              ;   in Loop: Header=BB31_11 Depth=1
	s_ashr_i32 s47, s46, 31
	s_sub_u32 s51, 0, s46
	s_subb_u32 s55, 0, s47
	s_add_u32 s58, s56, s46
	s_addc_u32 s59, s57, s47
	s_lshl_b64 s[62:63], s[58:59], 2
	s_add_u32 s64, s9, s62
	s_addc_u32 s65, s94, s63
	global_load_dword v4, v13, s[64:65] offset:-4
	s_waitcnt vmcnt(0)
	v_cmp_eq_f32_e32 vcc_lo, 0, v4
	s_cbranch_vccnz .LBB31_93
; %bb.90:                               ;   in Loop: Header=BB31_11 Depth=1
	v_cmp_eq_f32_e32 vcc_lo, 0, v1
	s_cbranch_vccnz .LBB31_94
; %bb.91:                               ;   in Loop: Header=BB31_11 Depth=1
	v_cmp_gt_f32_e64 s8, |v4|, |v1|
	s_and_b32 vcc_lo, exec_lo, s8
	s_cbranch_vccnz .LBB31_95
; %bb.92:                               ;   in Loop: Header=BB31_11 Depth=1
	v_div_scale_f32 v2, null, v1, v1, -v4
	v_div_scale_f32 v7, vcc_lo, -v4, v1, -v4
	v_rcp_f32_e32 v5, v2
	v_fma_f32 v6, -v2, v5, 1.0
	v_fmac_f32_e32 v5, v6, v5
	v_mul_f32_e32 v6, v7, v5
	v_fma_f32 v8, -v2, v6, v7
	v_fmac_f32_e32 v6, v8, v5
	v_fma_f32 v2, -v2, v6, v7
	v_div_fmas_f32 v2, v2, v5, v6
	v_div_fixup_f32 v2, v2, v1, -v4
	v_fma_f32 v5, v2, v2, 1.0
	v_mul_f32_e32 v6, 0x4f800000, v5
	v_cmp_gt_f32_e32 vcc_lo, 0xf800000, v5
	v_cndmask_b32_e32 v5, v5, v6, vcc_lo
	v_sqrt_f32_e32 v6, v5
	v_add_nc_u32_e32 v7, -1, v6
	v_add_nc_u32_e32 v8, 1, v6
	v_fma_f32 v9, -v7, v6, v5
	v_fma_f32 v10, -v8, v6, v5
	v_cmp_ge_f32_e64 s8, 0, v9
	v_cndmask_b32_e64 v6, v6, v7, s8
	v_cmp_lt_f32_e64 s8, 0, v10
	v_cndmask_b32_e64 v6, v6, v8, s8
	v_mul_f32_e32 v7, 0x37800000, v6
	v_cndmask_b32_e32 v6, v6, v7, vcc_lo
	v_cmp_class_f32_e64 vcc_lo, v5, 0x260
	v_cndmask_b32_e32 v5, v6, v5, vcc_lo
	v_div_scale_f32 v6, null, v5, v5, 1.0
	v_rcp_f32_e32 v7, v6
	v_fma_f32 v8, -v6, v7, 1.0
	v_fmac_f32_e32 v7, v8, v7
	v_div_scale_f32 v8, vcc_lo, 1.0, v5, 1.0
	v_mul_f32_e32 v9, v8, v7
	v_fma_f32 v10, -v6, v9, v8
	v_fmac_f32_e32 v9, v10, v7
	v_fma_f32 v6, -v6, v9, v8
	v_div_fmas_f32 v6, v6, v7, v9
	v_div_fixup_f32 v6, v6, v5, 1.0
	v_mul_f32_e32 v5, v2, v6
	s_cbranch_execz .LBB31_96
	s_branch .LBB31_97
.LBB31_93:                              ;   in Loop: Header=BB31_11 Depth=1
	v_mov_b32_e32 v6, 1.0
	s_branch .LBB31_97
.LBB31_94:                              ;   in Loop: Header=BB31_11 Depth=1
	v_mov_b32_e32 v6, 0
	v_mov_b32_e32 v5, 1.0
	s_branch .LBB31_97
.LBB31_95:                              ;   in Loop: Header=BB31_11 Depth=1
                                        ; implicit-def: $vgpr6
                                        ; implicit-def: $vgpr5
.LBB31_96:                              ;   in Loop: Header=BB31_11 Depth=1
	v_div_scale_f32 v2, null, v4, v4, -v1
	v_div_scale_f32 v7, vcc_lo, -v1, v4, -v1
	v_rcp_f32_e32 v5, v2
	v_fma_f32 v6, -v2, v5, 1.0
	v_fmac_f32_e32 v5, v6, v5
	v_mul_f32_e32 v6, v7, v5
	v_fma_f32 v8, -v2, v6, v7
	v_fmac_f32_e32 v6, v8, v5
	v_fma_f32 v2, -v2, v6, v7
	v_div_fmas_f32 v2, v2, v5, v6
	v_div_fixup_f32 v1, v2, v4, -v1
	v_fma_f32 v2, v1, v1, 1.0
	v_mul_f32_e32 v5, 0x4f800000, v2
	v_cmp_gt_f32_e32 vcc_lo, 0xf800000, v2
	v_cndmask_b32_e32 v2, v2, v5, vcc_lo
	v_sqrt_f32_e32 v5, v2
	v_add_nc_u32_e32 v6, -1, v5
	v_add_nc_u32_e32 v7, 1, v5
	v_fma_f32 v8, -v6, v5, v2
	v_fma_f32 v9, -v7, v5, v2
	v_cmp_ge_f32_e64 s8, 0, v8
	v_cndmask_b32_e64 v5, v5, v6, s8
	v_cmp_lt_f32_e64 s8, 0, v9
	v_cndmask_b32_e64 v5, v5, v7, s8
	v_mul_f32_e32 v6, 0x37800000, v5
	v_cndmask_b32_e32 v5, v5, v6, vcc_lo
	v_cmp_class_f32_e64 vcc_lo, v2, 0x260
	v_cndmask_b32_e32 v2, v5, v2, vcc_lo
	v_div_scale_f32 v5, null, v2, v2, 1.0
	v_rcp_f32_e32 v6, v5
	v_fma_f32 v7, -v5, v6, 1.0
	v_fmac_f32_e32 v6, v7, v6
	v_div_scale_f32 v7, vcc_lo, 1.0, v2, 1.0
	v_mul_f32_e32 v8, v7, v6
	v_fma_f32 v9, -v5, v8, v7
	v_fmac_f32_e32 v8, v9, v6
	v_fma_f32 v5, -v5, v8, v7
	v_div_fmas_f32 v5, v5, v6, v8
	v_div_fixup_f32 v5, v5, v2, 1.0
	v_mul_f32_e32 v6, v1, v5
.LBB31_97:                              ;   in Loop: Header=BB31_11 Depth=1
	s_lshl_b64 s[66:67], s[48:49], 2
	s_and_b32 s8, s73, s95
	v_mul_f32_e32 v1, v4, v6
	s_add_u32 s53, s40, s66
	s_addc_u32 s57, s41, s67
	s_sub_u32 s68, s46, s51
	s_subb_u32 s69, s47, s55
	v_fmac_f32_e32 v1, v3, v5
	s_lshl_b64 s[70:71], s[68:69], 2
	s_add_u32 s70, s60, s70
	s_addc_u32 s71, s61, s71
	global_store_dword v13, v1, s[64:65] offset:-4
	global_load_dword v2, v13, s[70:71] offset:-4
	v_cndmask_b32_e64 v1, 0, 1, s8
	s_andn2_b32 vcc_lo, exec_lo, s8
	s_waitcnt vmcnt(0)
	v_mul_f32_e32 v7, v6, v2
	global_store_dword v13, v7, s[70:71] offset:-4
	s_cbranch_vccnz .LBB31_99
; %bb.98:                               ;   in Loop: Header=BB31_11 Depth=1
	s_add_u32 s80, s53, s62
	s_addc_u32 s81, s57, s63
	s_ashr_i32 s55, s54, 31
	s_lshl_b64 s[86:87], s[54:55], 2
	s_add_u32 s86, s80, s86
	s_addc_u32 s87, s81, s87
	global_store_dword v13, v6, s[80:81] offset:12
	global_store_dword v13, v5, s[86:87] offset:12
.LBB31_99:                              ;   in Loop: Header=BB31_11 Depth=1
	s_cmp_lg_u32 s46, 1
	s_cselect_b32 s81, -1, 0
	s_cmp_eq_u32 s46, 1
	s_cselect_b32 s8, -1, 0
	s_or_b32 s80, s76, s8
	s_and_b32 vcc_lo, exec_lo, s80
	s_cbranch_vccnz .LBB31_101
; %bb.100:                              ;   in Loop: Header=BB31_11 Depth=1
	s_ashr_i32 s8, s21, 31
	s_add_u32 s86, s58, s21
	s_addc_u32 s87, s59, s8
	s_lshl_b64 s[86:87], s[86:87], 2
	s_add_u32 s86, s53, s86
	s_addc_u32 s87, s57, s87
	s_ashr_i32 s55, s54, 31
	s_lshl_b64 s[96:97], s[54:55], 2
	s_add_u32 s96, s86, s96
	s_addc_u32 s97, s87, s97
	global_store_dword v13, v6, s[86:87] offset:12
	global_store_dword v13, v5, s[96:97] offset:12
.LBB31_101:                             ;   in Loop: Header=BB31_11 Depth=1
	v_mul_f32_e64 v2, v2, -v5
	v_mul_f32_e32 v4, v4, v5
	v_cmp_eq_f32_e32 vcc_lo, 0, v2
	v_fma_f32 v3, v3, v6, -v4
	s_cbranch_vccnz .LBB31_105
; %bb.102:                              ;   in Loop: Header=BB31_11 Depth=1
	v_cmp_eq_f32_e32 vcc_lo, 0, v3
	s_cbranch_vccnz .LBB31_106
; %bb.103:                              ;   in Loop: Header=BB31_11 Depth=1
	v_cmp_gt_f32_e64 s8, |v2|, |v3|
	s_and_b32 vcc_lo, exec_lo, s8
	s_cbranch_vccnz .LBB31_107
; %bb.104:                              ;   in Loop: Header=BB31_11 Depth=1
	v_div_scale_f32 v4, null, v3, v3, -v2
	v_div_scale_f32 v7, vcc_lo, -v2, v3, -v2
	v_rcp_f32_e32 v5, v4
	v_fma_f32 v6, -v4, v5, 1.0
	v_fmac_f32_e32 v5, v6, v5
	v_mul_f32_e32 v6, v7, v5
	v_fma_f32 v8, -v4, v6, v7
	v_fmac_f32_e32 v6, v8, v5
	v_fma_f32 v4, -v4, v6, v7
	v_div_fmas_f32 v4, v4, v5, v6
	v_div_fixup_f32 v5, v4, v3, -v2
	v_fma_f32 v4, v5, v5, 1.0
	v_mul_f32_e32 v6, 0x4f800000, v4
	v_cmp_gt_f32_e32 vcc_lo, 0xf800000, v4
	v_cndmask_b32_e32 v4, v4, v6, vcc_lo
	v_sqrt_f32_e32 v6, v4
	v_add_nc_u32_e32 v7, -1, v6
	v_add_nc_u32_e32 v8, 1, v6
	v_fma_f32 v9, -v7, v6, v4
	v_fma_f32 v10, -v8, v6, v4
	v_cmp_ge_f32_e64 s8, 0, v9
	v_cndmask_b32_e64 v6, v6, v7, s8
	v_cmp_lt_f32_e64 s8, 0, v10
	v_cndmask_b32_e64 v6, v6, v8, s8
	v_mul_f32_e32 v7, 0x37800000, v6
	v_cndmask_b32_e32 v6, v6, v7, vcc_lo
	v_cmp_class_f32_e64 vcc_lo, v4, 0x260
	v_cndmask_b32_e32 v4, v6, v4, vcc_lo
	v_div_scale_f32 v6, null, v4, v4, 1.0
	v_rcp_f32_e32 v7, v6
	v_fma_f32 v8, -v6, v7, 1.0
	v_fmac_f32_e32 v7, v8, v7
	v_div_scale_f32 v8, vcc_lo, 1.0, v4, 1.0
	v_mul_f32_e32 v9, v8, v7
	v_fma_f32 v10, -v6, v9, v8
	v_fmac_f32_e32 v9, v10, v7
	v_fma_f32 v6, -v6, v9, v8
	v_div_fmas_f32 v6, v6, v7, v9
	v_div_fixup_f32 v4, v6, v4, 1.0
	v_mul_f32_e32 v5, v5, v4
	s_cbranch_execz .LBB31_108
	s_branch .LBB31_109
.LBB31_105:                             ;   in Loop: Header=BB31_11 Depth=1
	v_mov_b32_e32 v4, 1.0
	v_mov_b32_e32 v5, 0
	s_branch .LBB31_111
.LBB31_106:                             ;   in Loop: Header=BB31_11 Depth=1
	v_xor_b32_e32 v3, 0x80000000, v2
                                        ; implicit-def: $vgpr4
                                        ; implicit-def: $vgpr5
	s_cbranch_execnz .LBB31_110
	s_branch .LBB31_111
.LBB31_107:                             ;   in Loop: Header=BB31_11 Depth=1
                                        ; implicit-def: $vgpr4
                                        ; implicit-def: $vgpr5
.LBB31_108:                             ;   in Loop: Header=BB31_11 Depth=1
	v_div_scale_f32 v4, null, v2, v2, -v3
	v_div_scale_f32 v7, vcc_lo, -v3, v2, -v3
	v_rcp_f32_e32 v5, v4
	v_fma_f32 v6, -v4, v5, 1.0
	v_fmac_f32_e32 v5, v6, v5
	v_mul_f32_e32 v6, v7, v5
	v_fma_f32 v8, -v4, v6, v7
	v_fmac_f32_e32 v6, v8, v5
	v_fma_f32 v4, -v4, v6, v7
	v_div_fmas_f32 v4, v4, v5, v6
	v_div_fixup_f32 v4, v4, v2, -v3
	v_fma_f32 v5, v4, v4, 1.0
	v_mul_f32_e32 v6, 0x4f800000, v5
	v_cmp_gt_f32_e32 vcc_lo, 0xf800000, v5
	v_cndmask_b32_e32 v5, v5, v6, vcc_lo
	v_sqrt_f32_e32 v6, v5
	v_add_nc_u32_e32 v7, -1, v6
	v_add_nc_u32_e32 v8, 1, v6
	v_fma_f32 v9, -v7, v6, v5
	v_fma_f32 v10, -v8, v6, v5
	v_cmp_ge_f32_e64 s8, 0, v9
	v_cndmask_b32_e64 v6, v6, v7, s8
	v_cmp_lt_f32_e64 s8, 0, v10
	v_cndmask_b32_e64 v6, v6, v8, s8
	v_mul_f32_e32 v7, 0x37800000, v6
	v_cndmask_b32_e32 v6, v6, v7, vcc_lo
	v_cmp_class_f32_e64 vcc_lo, v5, 0x260
	v_cndmask_b32_e32 v5, v6, v5, vcc_lo
	v_div_scale_f32 v6, null, v5, v5, 1.0
	v_rcp_f32_e32 v7, v6
	v_fma_f32 v8, -v6, v7, 1.0
	v_fmac_f32_e32 v7, v8, v7
	v_div_scale_f32 v8, vcc_lo, 1.0, v5, 1.0
	v_mul_f32_e32 v9, v8, v7
	v_fma_f32 v10, -v6, v9, v8
	v_fmac_f32_e32 v9, v10, v7
	v_fma_f32 v6, -v6, v9, v8
	v_div_fmas_f32 v6, v6, v7, v9
	v_div_fixup_f32 v5, v6, v5, 1.0
	v_mul_f32_e32 v4, v4, v5
.LBB31_109:                             ;   in Loop: Header=BB31_11 Depth=1
	v_mul_f32_e32 v6, v2, v5
	v_fma_f32 v3, v3, v4, -v6
	s_branch .LBB31_111
.LBB31_110:                             ;   in Loop: Header=BB31_11 Depth=1
	v_mov_b32_e32 v4, 0
	v_mov_b32_e32 v5, 1.0
.LBB31_111:                             ;   in Loop: Header=BB31_11 Depth=1
	global_store_dword v13, v3, s[60:61]
	s_clause 0x1
	global_load_dword v7, v13, s[70:71] offset:-4
	global_load_dword v6, v13, s[64:65] offset:-4
	s_cmp_eq_u32 s54, 2
	s_waitcnt vmcnt(1)
	v_mul_f32_e32 v3, v4, v7
	s_waitcnt vmcnt(0)
	v_fmac_f32_e32 v3, v5, v6
	global_store_dword v13, v3, s[70:71] offset:-4
	s_cbranch_scc0 .LBB31_169
; %bb.112:                              ;   in Loop: Header=BB31_11 Depth=1
	s_and_b32 s8, s73, s81
	v_cndmask_b32_e64 v3, 0, 1, s8
	s_andn2_b32 vcc_lo, exec_lo, s8
	s_cbranch_vccz .LBB31_170
.LBB31_113:                             ;   in Loop: Header=BB31_11 Depth=1
	s_xor_b32 s8, s95, -1
	s_or_b32 s8, s76, s8
	s_and_b32 vcc_lo, exec_lo, s8
	s_cbranch_vccnz .LBB31_115
.LBB31_114:                             ;   in Loop: Header=BB31_11 Depth=1
	s_ashr_i32 s51, s21, 31
	s_add_u32 s58, s58, s21
	s_addc_u32 s59, s59, s51
	s_lshl_b64 s[58:59], s[58:59], 2
	s_add_u32 s58, s53, s58
	s_addc_u32 s59, s57, s59
	s_ashr_i32 s55, s54, 31
	s_lshl_b64 s[60:61], s[54:55], 2
	s_add_u32 s60, s58, s60
	s_addc_u32 s61, s59, s61
	global_store_dword v13, v4, s[58:59] offset:12
	global_store_dword v13, v5, s[60:61] offset:12
.LBB31_115:                             ;   in Loop: Header=BB31_11 Depth=1
	v_mul_f32_e32 v5, v5, v7
	s_cmp_eq_u32 s20, 1
	s_mov_b32 s51, 0
	v_fma_f32 v4, v4, v6, -v5
	s_cbranch_scc1 .LBB31_148
; %bb.116:                              ;   in Loop: Header=BB31_11 Depth=1
	s_xor_b32 s62, s80, -1
	s_lshl_b64 s[80:81], s[46:47], 3
	s_xor_b32 s63, s8, -1
	s_add_i32 s58, s56, s50
	s_add_i32 s51, s20, -1
	s_sub_i32 s60, s56, s52
	s_ashr_i32 s8, s21, 31
	s_ashr_i32 s55, s54, 31
	s_add_u32 s86, s80, s44
	s_addc_u32 s87, s81, s45
	s_ashr_i32 s59, s58, 31
	v_readlane_b32 s56, v28, 0
	s_lshl_b64 s[58:59], s[58:59], 2
	s_mov_b32 s99, 1
	s_add_u32 s47, s86, s58
	s_addc_u32 s53, s87, s59
	s_add_u32 s47, s56, s47
	v_readlane_b32 s56, v28, 1
	s_addc_u32 s64, s56, s53
	s_lshl_b32 s53, s46, 1
	s_add_i32 s56, s53, -2
	s_ashr_i32 s57, s56, 31
	s_lshl_b64 s[56:57], s[56:57], 2
	s_or_b32 s56, s56, 4
	s_add_u32 s53, s44, s58
	s_addc_u32 s58, s45, s59
	s_add_u32 s65, s24, s53
	s_addc_u32 s70, s33, s58
	;; [unrolled: 2-line block ×3, first 2 shown]
	s_ashr_i32 s61, s60, 31
	s_add_u32 s58, s53, s60
	s_addc_u32 s59, s8, s61
	s_lshl_b64 s[58:59], s[58:59], 2
	s_add_u32 s8, s58, s66
	s_addc_u32 s53, s59, s67
	s_lshl_b64 s[54:55], s[54:55], 2
	s_add_u32 s58, s8, s54
	s_addc_u32 s59, s53, s55
	s_add_u32 s68, s84, s58
	s_addc_u32 s69, s85, s59
	;; [unrolled: 2-line block ×4, first 2 shown]
	s_lshl_b64 s[58:59], s[60:61], 2
	s_add_u32 s8, s8, s58
	s_addc_u32 s53, s53, s59
	s_add_u32 s54, s8, s54
	s_addc_u32 s55, s53, s55
	;; [unrolled: 2-line block ×6, first 2 shown]
	s_mul_i32 s8, s46, 12
	s_lshl_b64 s[54:55], s[54:55], 2
	s_mul_hi_i32 s53, s46, 12
	s_add_u32 s8, s8, s54
	s_addc_u32 s54, s53, s55
	s_ashr_i32 s53, s52, 31
	s_lshl_b64 s[52:53], s[52:53], 2
	s_sub_u32 s8, s8, s52
	s_subb_u32 s52, s54, s53
	v_readlane_b32 s53, v28, 2
	s_add_u32 s104, s53, s8
	v_readlane_b32 s8, v28, 3
	v_readlane_b32 s53, v28, 4
	s_addc_u32 vcc_hi, s8, s52
	s_add_u32 s8, s86, s58
	s_addc_u32 s52, s87, s59
	s_add_u32 s80, s53, s8
	v_readlane_b32 s8, v28, 5
	s_addc_u32 s81, s8, s52
	s_add_u32 s8, s44, s58
	s_addc_u32 s52, s45, s59
	s_add_u32 s86, s36, s8
	s_addc_u32 s87, s72, s52
	s_mov_b64 s[52:53], 0
	s_branch .LBB31_118
.LBB31_117:                             ;   in Loop: Header=BB31_118 Depth=2
	v_mul_f32_e32 v6, v6, v7
	s_add_i32 s99, s99, 1
	s_add_u32 s52, s52, s56
	s_addc_u32 s53, s53, s57
	s_cmp_eq_u32 s20, s99
	v_fma_f32 v4, v5, v4, -v6
	s_cbranch_scc1 .LBB31_148
.LBB31_118:                             ;   Parent Loop BB31_11 Depth=1
                                        ; =>  This Inner Loop Header: Depth=2
	v_cmp_eq_f32_e32 vcc_lo, 0, v2
	s_cbranch_vccnz .LBB31_122
; %bb.119:                              ;   in Loop: Header=BB31_118 Depth=2
	v_cmp_neq_f32_e32 vcc_lo, 0, v4
	s_cbranch_vccz .LBB31_123
; %bb.120:                              ;   in Loop: Header=BB31_118 Depth=2
	v_cmp_ngt_f32_e64 s8, |v2|, |v4|
	s_and_b32 vcc_lo, exec_lo, s8
	s_cbranch_vccz .LBB31_124
; %bb.121:                              ;   in Loop: Header=BB31_118 Depth=2
	v_div_scale_f32 v5, null, v4, v4, -v2
	v_div_scale_f32 v8, vcc_lo, -v2, v4, -v2
	v_rcp_f32_e32 v6, v5
	v_fma_f32 v7, -v5, v6, 1.0
	v_fmac_f32_e32 v6, v7, v6
	v_mul_f32_e32 v7, v8, v6
	v_fma_f32 v9, -v5, v7, v8
	v_fmac_f32_e32 v7, v9, v6
	v_fma_f32 v5, -v5, v7, v8
	v_div_fmas_f32 v5, v5, v6, v7
	v_div_fixup_f32 v6, v5, v4, -v2
	v_fma_f32 v5, v6, v6, 1.0
	v_mul_f32_e32 v7, 0x4f800000, v5
	v_cmp_gt_f32_e32 vcc_lo, 0xf800000, v5
	v_cndmask_b32_e32 v5, v5, v7, vcc_lo
	v_sqrt_f32_e32 v7, v5
	v_add_nc_u32_e32 v8, -1, v7
	v_add_nc_u32_e32 v9, 1, v7
	v_fma_f32 v10, -v8, v7, v5
	v_fma_f32 v21, -v9, v7, v5
	v_cmp_ge_f32_e64 s8, 0, v10
	v_cndmask_b32_e64 v7, v7, v8, s8
	v_cmp_lt_f32_e64 s8, 0, v21
	v_cndmask_b32_e64 v7, v7, v9, s8
	v_mul_f32_e32 v8, 0x37800000, v7
	v_cndmask_b32_e32 v7, v7, v8, vcc_lo
	v_cmp_class_f32_e64 vcc_lo, v5, 0x260
	v_cndmask_b32_e32 v5, v7, v5, vcc_lo
	v_div_scale_f32 v7, null, v5, v5, 1.0
	v_rcp_f32_e32 v8, v7
	v_fma_f32 v9, -v7, v8, 1.0
	v_fmac_f32_e32 v8, v9, v8
	v_div_scale_f32 v9, vcc_lo, 1.0, v5, 1.0
	v_mul_f32_e32 v10, v9, v8
	v_fma_f32 v21, -v7, v10, v9
	v_fmac_f32_e32 v10, v21, v8
	v_fma_f32 v7, -v7, v10, v9
	v_div_fmas_f32 v7, v7, v8, v10
	v_div_fixup_f32 v5, v7, v5, 1.0
	v_mul_f32_e32 v6, v6, v5
	s_cbranch_execz .LBB31_125
	s_branch .LBB31_126
.LBB31_122:                             ;   in Loop: Header=BB31_118 Depth=2
	v_mov_b32_e32 v5, 1.0
	v_mov_b32_e32 v6, 0
	s_branch .LBB31_128
.LBB31_123:                             ;   in Loop: Header=BB31_118 Depth=2
	v_xor_b32_e32 v4, 0x80000000, v2
                                        ; implicit-def: $vgpr5
                                        ; implicit-def: $vgpr6
	s_cbranch_execnz .LBB31_127
	s_branch .LBB31_128
.LBB31_124:                             ;   in Loop: Header=BB31_118 Depth=2
                                        ; implicit-def: $vgpr5
                                        ; implicit-def: $vgpr6
.LBB31_125:                             ;   in Loop: Header=BB31_118 Depth=2
	v_div_scale_f32 v5, null, v2, v2, -v4
	v_div_scale_f32 v8, vcc_lo, -v4, v2, -v4
	v_rcp_f32_e32 v6, v5
	v_fma_f32 v7, -v5, v6, 1.0
	v_fmac_f32_e32 v6, v7, v6
	v_mul_f32_e32 v7, v8, v6
	v_fma_f32 v9, -v5, v7, v8
	v_fmac_f32_e32 v7, v9, v6
	v_fma_f32 v5, -v5, v7, v8
	v_div_fmas_f32 v5, v5, v6, v7
	v_div_fixup_f32 v5, v5, v2, -v4
	v_fma_f32 v6, v5, v5, 1.0
	v_mul_f32_e32 v7, 0x4f800000, v6
	v_cmp_gt_f32_e32 vcc_lo, 0xf800000, v6
	v_cndmask_b32_e32 v6, v6, v7, vcc_lo
	v_sqrt_f32_e32 v7, v6
	v_add_nc_u32_e32 v8, -1, v7
	v_add_nc_u32_e32 v9, 1, v7
	v_fma_f32 v10, -v8, v7, v6
	v_fma_f32 v21, -v9, v7, v6
	v_cmp_ge_f32_e64 s8, 0, v10
	v_cndmask_b32_e64 v7, v7, v8, s8
	v_cmp_lt_f32_e64 s8, 0, v21
	v_cndmask_b32_e64 v7, v7, v9, s8
	v_mul_f32_e32 v8, 0x37800000, v7
	v_cndmask_b32_e32 v7, v7, v8, vcc_lo
	v_cmp_class_f32_e64 vcc_lo, v6, 0x260
	v_cndmask_b32_e32 v6, v7, v6, vcc_lo
	v_div_scale_f32 v7, null, v6, v6, 1.0
	v_rcp_f32_e32 v8, v7
	v_fma_f32 v9, -v7, v8, 1.0
	v_fmac_f32_e32 v8, v9, v8
	v_div_scale_f32 v9, vcc_lo, 1.0, v6, 1.0
	v_mul_f32_e32 v10, v9, v8
	v_fma_f32 v21, -v7, v10, v9
	v_fmac_f32_e32 v10, v21, v8
	v_fma_f32 v7, -v7, v10, v9
	v_div_fmas_f32 v7, v7, v8, v10
	v_div_fixup_f32 v6, v7, v6, 1.0
	v_mul_f32_e32 v5, v5, v6
.LBB31_126:                             ;   in Loop: Header=BB31_118 Depth=2
	v_mul_f32_e32 v2, v2, v6
	v_fma_f32 v4, v4, v5, -v2
	s_branch .LBB31_128
.LBB31_127:                             ;   in Loop: Header=BB31_118 Depth=2
	v_mov_b32_e32 v5, 0
	v_mov_b32_e32 v6, 1.0
.LBB31_128:                             ;   in Loop: Header=BB31_118 Depth=2
	s_add_u32 s60, s86, s52
	s_addc_u32 s61, s87, s53
	s_add_u32 s54, s65, s52
	s_addc_u32 s55, s70, s53
	;; [unrolled: 2-line block ×3, first 2 shown]
	global_store_dword v13, v4, s[60:61]
	s_clause 0x1
	global_load_dword v7, v13, s[58:59]
	global_load_dword v4, v13, s[54:55]
	s_add_u32 s60, s47, s52
	s_addc_u32 s61, s64, s53
	v_cmp_ne_u32_e32 vcc_lo, 1, v1
	s_and_b32 vcc_lo, exec_lo, vcc_lo
	s_waitcnt vmcnt(1)
	v_mul_f32_e32 v2, v5, v7
	s_waitcnt vmcnt(0)
	v_fmac_f32_e32 v2, v6, v4
	global_store_dword v13, v2, s[58:59]
	global_load_dword v2, v13, s[60:61]
	s_waitcnt vmcnt(0)
	v_mul_f32_e32 v8, v5, v2
	global_store_dword v13, v8, s[60:61]
	s_cbranch_vccnz .LBB31_130
; %bb.129:                              ;   in Loop: Header=BB31_118 Depth=2
	s_add_u32 s88, s97, s52
	s_addc_u32 s89, s98, s53
	s_add_u32 s90, s66, s52
	s_addc_u32 s91, s67, s53
	global_store_dword v13, v5, s[88:89]
	global_store_dword v13, v6, s[90:91]
.LBB31_130:                             ;   in Loop: Header=BB31_118 Depth=2
	s_andn2_b32 vcc_lo, exec_lo, s62
	s_cbranch_vccnz .LBB31_132
; %bb.131:                              ;   in Loop: Header=BB31_118 Depth=2
	s_add_u32 s88, s71, s52
	s_addc_u32 s89, s96, s53
	s_add_u32 s90, s68, s52
	s_addc_u32 s91, s69, s53
	global_store_dword v13, v5, s[88:89]
	global_store_dword v13, v6, s[90:91]
.LBB31_132:                             ;   in Loop: Header=BB31_118 Depth=2
	v_mul_f32_e64 v2, v2, -v6
	v_mul_f32_e32 v6, v6, v7
	v_cmp_eq_f32_e32 vcc_lo, 0, v2
	v_fma_f32 v4, v5, v4, -v6
	s_cbranch_vccnz .LBB31_136
; %bb.133:                              ;   in Loop: Header=BB31_118 Depth=2
	v_cmp_neq_f32_e32 vcc_lo, 0, v4
	s_cbranch_vccz .LBB31_137
; %bb.134:                              ;   in Loop: Header=BB31_118 Depth=2
	v_cmp_ngt_f32_e64 s8, |v2|, |v4|
	s_and_b32 vcc_lo, exec_lo, s8
	s_cbranch_vccz .LBB31_138
; %bb.135:                              ;   in Loop: Header=BB31_118 Depth=2
	v_div_scale_f32 v5, null, v4, v4, -v2
	v_div_scale_f32 v8, vcc_lo, -v2, v4, -v2
	v_rcp_f32_e32 v6, v5
	v_fma_f32 v7, -v5, v6, 1.0
	v_fmac_f32_e32 v6, v7, v6
	v_mul_f32_e32 v7, v8, v6
	v_fma_f32 v9, -v5, v7, v8
	v_fmac_f32_e32 v7, v9, v6
	v_fma_f32 v5, -v5, v7, v8
	v_div_fmas_f32 v5, v5, v6, v7
	v_div_fixup_f32 v6, v5, v4, -v2
	v_fma_f32 v5, v6, v6, 1.0
	v_mul_f32_e32 v7, 0x4f800000, v5
	v_cmp_gt_f32_e32 vcc_lo, 0xf800000, v5
	v_cndmask_b32_e32 v5, v5, v7, vcc_lo
	v_sqrt_f32_e32 v7, v5
	v_add_nc_u32_e32 v8, -1, v7
	v_add_nc_u32_e32 v9, 1, v7
	v_fma_f32 v10, -v8, v7, v5
	v_fma_f32 v21, -v9, v7, v5
	v_cmp_ge_f32_e64 s8, 0, v10
	v_cndmask_b32_e64 v7, v7, v8, s8
	v_cmp_lt_f32_e64 s8, 0, v21
	v_cndmask_b32_e64 v7, v7, v9, s8
	v_mul_f32_e32 v8, 0x37800000, v7
	v_cndmask_b32_e32 v7, v7, v8, vcc_lo
	v_cmp_class_f32_e64 vcc_lo, v5, 0x260
	v_cndmask_b32_e32 v5, v7, v5, vcc_lo
	v_div_scale_f32 v7, null, v5, v5, 1.0
	v_rcp_f32_e32 v8, v7
	v_fma_f32 v9, -v7, v8, 1.0
	v_fmac_f32_e32 v8, v9, v8
	v_div_scale_f32 v9, vcc_lo, 1.0, v5, 1.0
	v_mul_f32_e32 v10, v9, v8
	v_fma_f32 v21, -v7, v10, v9
	v_fmac_f32_e32 v10, v21, v8
	v_fma_f32 v7, -v7, v10, v9
	v_div_fmas_f32 v7, v7, v8, v10
	v_div_fixup_f32 v5, v7, v5, 1.0
	v_mul_f32_e32 v6, v6, v5
	s_cbranch_execz .LBB31_139
	s_branch .LBB31_140
.LBB31_136:                             ;   in Loop: Header=BB31_118 Depth=2
	v_mov_b32_e32 v5, 1.0
	v_mov_b32_e32 v6, 0
	s_branch .LBB31_142
.LBB31_137:                             ;   in Loop: Header=BB31_118 Depth=2
	v_xor_b32_e32 v4, 0x80000000, v2
                                        ; implicit-def: $vgpr5
                                        ; implicit-def: $vgpr6
	s_cbranch_execnz .LBB31_141
	s_branch .LBB31_142
.LBB31_138:                             ;   in Loop: Header=BB31_118 Depth=2
                                        ; implicit-def: $vgpr5
                                        ; implicit-def: $vgpr6
.LBB31_139:                             ;   in Loop: Header=BB31_118 Depth=2
	v_div_scale_f32 v5, null, v2, v2, -v4
	v_div_scale_f32 v8, vcc_lo, -v4, v2, -v4
	v_rcp_f32_e32 v6, v5
	v_fma_f32 v7, -v5, v6, 1.0
	v_fmac_f32_e32 v6, v7, v6
	v_mul_f32_e32 v7, v8, v6
	v_fma_f32 v9, -v5, v7, v8
	v_fmac_f32_e32 v7, v9, v6
	v_fma_f32 v5, -v5, v7, v8
	v_div_fmas_f32 v5, v5, v6, v7
	v_div_fixup_f32 v5, v5, v2, -v4
	v_fma_f32 v6, v5, v5, 1.0
	v_mul_f32_e32 v7, 0x4f800000, v6
	v_cmp_gt_f32_e32 vcc_lo, 0xf800000, v6
	v_cndmask_b32_e32 v6, v6, v7, vcc_lo
	v_sqrt_f32_e32 v7, v6
	v_add_nc_u32_e32 v8, -1, v7
	v_add_nc_u32_e32 v9, 1, v7
	v_fma_f32 v10, -v8, v7, v6
	v_fma_f32 v21, -v9, v7, v6
	v_cmp_ge_f32_e64 s8, 0, v10
	v_cndmask_b32_e64 v7, v7, v8, s8
	v_cmp_lt_f32_e64 s8, 0, v21
	v_cndmask_b32_e64 v7, v7, v9, s8
	v_mul_f32_e32 v8, 0x37800000, v7
	v_cndmask_b32_e32 v7, v7, v8, vcc_lo
	v_cmp_class_f32_e64 vcc_lo, v6, 0x260
	v_cndmask_b32_e32 v6, v7, v6, vcc_lo
	v_div_scale_f32 v7, null, v6, v6, 1.0
	v_rcp_f32_e32 v8, v7
	v_fma_f32 v9, -v7, v8, 1.0
	v_fmac_f32_e32 v8, v9, v8
	v_div_scale_f32 v9, vcc_lo, 1.0, v6, 1.0
	v_mul_f32_e32 v10, v9, v8
	v_fma_f32 v21, -v7, v10, v9
	v_fmac_f32_e32 v10, v21, v8
	v_fma_f32 v7, -v7, v10, v9
	v_div_fmas_f32 v7, v7, v8, v10
	v_div_fixup_f32 v6, v7, v6, 1.0
	v_mul_f32_e32 v5, v5, v6
.LBB31_140:                             ;   in Loop: Header=BB31_118 Depth=2
	v_mul_f32_e32 v7, v2, v6
	v_fma_f32 v4, v4, v5, -v7
	s_branch .LBB31_142
.LBB31_141:                             ;   in Loop: Header=BB31_118 Depth=2
	v_mov_b32_e32 v5, 0
	v_mov_b32_e32 v6, 1.0
.LBB31_142:                             ;   in Loop: Header=BB31_118 Depth=2
	global_store_dword v13, v4, s[54:55]
	s_clause 0x1
	global_load_dword v7, v13, s[60:61]
	global_load_dword v4, v13, s[58:59]
	s_cmp_ge_i32 s99, s51
	s_waitcnt vmcnt(1)
	v_mul_f32_e32 v8, v5, v7
	s_waitcnt vmcnt(0)
	v_fmac_f32_e32 v8, v6, v4
	global_store_dword v13, v8, s[60:61]
	s_cbranch_scc0 .LBB31_145
; %bb.143:                              ;   in Loop: Header=BB31_118 Depth=2
	v_cmp_ne_u32_e32 vcc_lo, 1, v3
	s_cbranch_vccz .LBB31_146
.LBB31_144:                             ;   in Loop: Header=BB31_118 Depth=2
	s_andn2_b32 vcc_lo, exec_lo, s63
	s_cbranch_vccnz .LBB31_117
	s_branch .LBB31_147
.LBB31_145:                             ;   in Loop: Header=BB31_118 Depth=2
	s_add_u32 s54, s104, s52
	s_addc_u32 s55, vcc_hi, s53
	global_load_dword v2, v13, s[54:55]
	s_waitcnt vmcnt(0)
	v_mul_f32_e32 v8, v5, v2
	v_mul_f32_e64 v2, v2, -v6
	global_store_dword v13, v8, s[54:55]
	v_cmp_ne_u32_e32 vcc_lo, 1, v3
	s_cbranch_vccnz .LBB31_144
.LBB31_146:                             ;   in Loop: Header=BB31_118 Depth=2
	s_add_u32 s54, s97, s52
	s_addc_u32 s55, s98, s53
	s_add_u32 s58, s66, s52
	s_addc_u32 s59, s67, s53
	global_store_dword v13, v5, s[54:55]
	global_store_dword v13, v6, s[58:59]
	s_andn2_b32 vcc_lo, exec_lo, s63
	s_cbranch_vccnz .LBB31_117
.LBB31_147:                             ;   in Loop: Header=BB31_118 Depth=2
	s_add_u32 s54, s71, s52
	s_addc_u32 s55, s96, s53
	s_add_u32 s58, s68, s52
	s_addc_u32 s59, s69, s53
	global_store_dword v13, v5, s[54:55]
	global_store_dword v13, v6, s[58:59]
	s_branch .LBB31_117
.LBB31_148:                             ;   in Loop: Header=BB31_11 Depth=1
	s_and_b32 s8, s95, exec_lo
	s_cselect_b32 s52, s51, 0
	s_ashr_i32 s53, s52, 31
	s_lshl_b64 s[52:53], s[52:53], 2
	s_add_u32 s8, s9, s52
	s_addc_u32 s9, s94, s53
	global_store_dword v13, v4, s[8:9]
.LBB31_149:                             ;   in Loop: Header=BB31_11 Depth=1
	s_or_b32 exec_lo, exec_lo, s31
	s_andn2_b32 vcc_lo, exec_lo, s77
	s_waitcnt_vscnt null, 0x0
	s_barrier
	buffer_gl0_inv
	s_cbranch_vccz .LBB31_152
; %bb.150:                              ;   in Loop: Header=BB31_11 Depth=1
	s_andn2_b32 vcc_lo, exec_lo, s78
	s_cbranch_vccz .LBB31_158
.LBB31_151:                             ;   in Loop: Header=BB31_11 Depth=1
	s_andn2_b32 vcc_lo, exec_lo, s79
	s_cbranch_vccnz .LBB31_10
	s_branch .LBB31_164
.LBB31_152:                             ;   in Loop: Header=BB31_11 Depth=1
	s_and_saveexec_b32 s9, s4
	s_cbranch_execz .LBB31_157
; %bb.153:                              ;   in Loop: Header=BB31_11 Depth=1
	s_load_dword s31, s[28:29], 0xc
	s_lshl_b64 s[52:53], s[42:43], 3
	v_mov_b32_e32 v21, v14
	s_add_u32 s51, s34, s52
	s_addc_u32 s60, s35, s53
	s_add_i32 s47, s20, -1
	s_cmp_eq_u32 s46, 0
	v_mov_b32_e32 v22, v0
	s_cselect_b32 s8, s20, 0
	s_cselect_b32 s54, s47, 0
	s_ashr_i32 s47, s46, 31
	s_ashr_i32 s55, s8, 31
	s_lshl_b64 s[56:57], s[46:47], 1
	v_add_nc_u32_e32 v1, s8, v14
	s_mov_b32 s61, 0
	s_waitcnt lgkmcnt(0)
	s_and_b32 s47, s31, 0xffff
	s_add_u32 s62, s56, s8
	s_addc_u32 s63, s57, s55
	s_lshl_b32 s31, s46, 1
	s_mul_i32 s68, s15, s47
	s_add_i32 s58, s31, -2
	v_readlane_b32 s31, v28, 6
	s_ashr_i32 s59, s58, 31
	s_or_b32 s64, s58, 1
	s_mov_b32 s69, s59
	s_add_u32 s65, s31, s52
	v_readlane_b32 s31, v28, 7
	s_addc_u32 s66, s31, s53
	s_ashr_i32 s31, s30, 31
	s_lshl_b64 s[52:53], s[58:59], 3
	s_lshl_b64 s[56:57], s[30:31], 2
	s_or_b32 s52, s52, 8
	s_sub_u32 s31, s56, s44
	s_subb_u32 s55, s57, s45
	s_add_u32 s31, s31, 20
	s_addc_u32 s67, s55, 0
	s_ashr_i32 s55, s54, 31
	s_lshl_b64 s[56:57], s[48:49], 2
	s_lshl_b64 s[54:55], s[54:55], 2
	s_add_u32 s54, s54, s56
	s_addc_u32 s55, s55, s57
	s_add_u32 s54, s82, s54
	s_addc_u32 s55, s83, s55
	s_lshl_b64 s[56:57], s[58:59], 2
	s_or_b32 s56, s56, 4
.LBB31_154:                             ;   Parent Loop BB31_11 Depth=1
                                        ; =>  This Loop Header: Depth=2
                                        ;       Child Loop BB31_155 Depth 3
	v_mad_u64_u32 v[2:3], null, v22, s15, s[8:9]
	v_ashrrev_i32_e32 v6, 31, v21
	s_mov_b64 s[58:59], s[54:55]
	s_mov_b32 s70, s20
	v_ashrrev_i32_e32 v3, 31, v2
	v_lshlrev_b64 v[2:3], 3, v[2:3]
	v_add_co_u32 v2, vcc_lo, s51, v2
	v_add_co_ci_u32_e64 v3, null, s60, v3, vcc_lo
	v_add_co_u32 v5, vcc_lo, s62, v21
	v_add_co_ci_u32_e64 v6, null, s63, v6, vcc_lo
	global_load_dwordx2 v[3:4], v[2:3], off
	v_ashrrev_i32_e32 v2, 31, v1
	v_lshlrev_b64 v[7:8], 3, v[1:2]
	v_add_co_u32 v7, vcc_lo, s65, v7
	v_add_co_ci_u32_e64 v8, null, s66, v8, vcc_lo
	s_inst_prefetch 0x1
	.p2align	6
.LBB31_155:                             ;   Parent Loop BB31_11 Depth=1
                                        ;     Parent Loop BB31_154 Depth=2
                                        ; =>    This Inner Loop Header: Depth=3
	v_lshlrev_b64 v[9:10], 3, v[5:6]
	s_add_u32 s80, s58, s31
	s_addc_u32 s81, s59, s67
	s_clause 0x1
	global_load_dword v2, v13, s[58:59] offset:16
	global_load_dword v27, v13, s[80:81]
	s_add_i32 s70, s70, -1
	v_add_co_u32 v9, vcc_lo, s51, v9
	v_add_co_ci_u32_e64 v10, null, s60, v10, vcc_lo
	v_add_co_u32 v5, vcc_lo, v5, s64
	v_add_co_ci_u32_e64 v6, null, s69, v6, vcc_lo
	global_load_dwordx2 v[23:24], v[9:10], off offset:-8
	s_add_u32 s58, s58, s56
	s_addc_u32 s59, s59, s57
	s_cmp_eq_u32 s70, 0
	s_waitcnt vmcnt(0)
	v_mul_f32_e32 v25, v23, v27
	v_mul_f32_e32 v26, v24, v27
	v_fma_f32 v25, v3, v2, -v25
	v_fma_f32 v26, v4, v2, -v26
	v_mul_f32_e32 v3, v3, v27
	v_mul_f32_e32 v4, v4, v27
	global_store_dwordx2 v[7:8], v[25:26], off offset:-4
	v_add_co_u32 v7, vcc_lo, v7, s52
	v_fmac_f32_e32 v3, v23, v2
	v_fmac_f32_e32 v4, v24, v2
	v_add_co_ci_u32_e64 v8, null, s53, v8, vcc_lo
	s_cbranch_scc0 .LBB31_155
; %bb.156:                              ;   in Loop: Header=BB31_154 Depth=2
	s_inst_prefetch 0x2
	v_add_nc_u32_e32 v22, s47, v22
	v_add_nc_u32_e32 v21, s68, v21
	;; [unrolled: 1-line block ×3, first 2 shown]
	global_store_dwordx2 v[9:10], v[3:4], off offset:-8
	v_cmp_le_i32_e32 vcc_lo, s25, v22
	s_or_b32 s61, vcc_lo, s61
	s_andn2_b32 exec_lo, exec_lo, s61
	s_cbranch_execnz .LBB31_154
.LBB31_157:                             ;   in Loop: Header=BB31_11 Depth=1
	s_or_b32 exec_lo, exec_lo, s9
	s_andn2_b32 vcc_lo, exec_lo, s78
	s_cbranch_vccnz .LBB31_151
.LBB31_158:                             ;   in Loop: Header=BB31_11 Depth=1
	s_and_saveexec_b32 s47, s5
	s_cbranch_execz .LBB31_163
; %bb.159:                              ;   in Loop: Header=BB31_11 Depth=1
	s_load_dword s51, s[28:29], 0xc
	s_mul_i32 s8, s42, s13
	v_mov_b32_e32 v7, v0
	s_ashr_i32 s9, s8, 31
	s_mul_i32 s60, s13, s50
	s_lshl_b64 s[8:9], s[8:9], 3
	s_add_u32 s54, s10, s8
	s_addc_u32 s55, s11, s9
	s_add_i32 s8, s20, -1
	s_cmp_eq_u32 s46, 0
	s_cselect_b32 s59, s20, 0
	s_cselect_b32 s8, s8, 0
	s_ashr_i32 s31, s30, 31
	s_add_i32 s8, s8, s21
	s_lshl_b64 s[52:53], s[30:31], 2
	s_mul_i32 s58, s59, s13
	v_add_nc_u32_e32 v6, s58, v0
	s_waitcnt lgkmcnt(0)
	s_and_b32 s31, s51, 0xffff
	s_sub_u32 s9, s52, s44
	s_subb_u32 s51, s53, s45
	s_add_u32 s56, s9, 20
	s_addc_u32 s57, s51, 0
	s_ashr_i32 s9, s8, 31
	s_lshl_b64 s[52:53], s[48:49], 2
	s_lshl_b64 s[8:9], s[8:9], 2
	s_add_u32 s8, s52, s8
	s_addc_u32 s9, s53, s9
	s_add_u32 s8, s82, s8
	s_addc_u32 s9, s83, s9
	s_lshl_b32 s51, s46, 1
	s_add_i32 s52, s51, -2
	s_add_i32 s51, s59, s51
	s_ashr_i32 s53, s52, 31
	s_add_i32 s51, s51, -1
	s_lshl_b64 s[52:53], s[52:53], 2
	v_mad_u64_u32 v[1:2], null, s13, s51, v[0:1]
	s_mov_b32 s59, 0
	s_or_b32 s52, s52, 4
.LBB31_160:                             ;   Parent Loop BB31_11 Depth=1
                                        ; =>  This Loop Header: Depth=2
                                        ;       Child Loop BB31_161 Depth 3
	v_add_nc_u32_e32 v2, s58, v7
	s_mov_b32 s61, 0
	s_mov_b64 s[50:51], s[8:9]
	s_mov_b32 s62, s20
	v_ashrrev_i32_e32 v3, 31, v2
	v_lshlrev_b64 v[2:3], 3, v[2:3]
	v_add_co_u32 v2, vcc_lo, s54, v2
	v_add_co_ci_u32_e64 v3, null, s55, v3, vcc_lo
	global_load_dwordx2 v[2:3], v[2:3], off
	s_inst_prefetch 0x1
	.p2align	6
.LBB31_161:                             ;   Parent Loop BB31_11 Depth=1
                                        ;     Parent Loop BB31_160 Depth=2
                                        ; =>    This Inner Loop Header: Depth=3
	v_add_nc_u32_e32 v4, s61, v1
	s_add_u32 s64, s50, s56
	s_addc_u32 s65, s51, s57
	s_clause 0x1
	global_load_dword v10, v13, s[50:51] offset:16
	global_load_dword v25, v13, s[64:65]
	v_ashrrev_i32_e32 v5, 31, v4
	v_add_nc_u32_e32 v21, s61, v6
	s_add_i32 s62, s62, -1
	s_add_u32 s50, s50, s52
	s_addc_u32 s51, s51, s53
	v_lshlrev_b64 v[4:5], 3, v[4:5]
	v_ashrrev_i32_e32 v22, 31, v21
	s_add_i32 s61, s61, s60
	s_cmp_eq_u32 s62, 0
	v_lshlrev_b64 v[21:22], 3, v[21:22]
	v_add_co_u32 v4, vcc_lo, s54, v4
	v_add_co_ci_u32_e64 v5, null, s55, v5, vcc_lo
	v_add_co_u32 v21, vcc_lo, s54, v21
	global_load_dwordx2 v[8:9], v[4:5], off
	v_add_co_ci_u32_e64 v22, null, s55, v22, vcc_lo
	s_waitcnt vmcnt(0)
	v_mul_f32_e32 v23, v8, v25
	v_mul_f32_e32 v24, v9, v25
	v_fma_f32 v23, v2, v10, -v23
	v_fma_f32 v24, v3, v10, -v24
	v_mul_f32_e32 v2, v2, v25
	v_mul_f32_e32 v3, v3, v25
	global_store_dwordx2 v[21:22], v[23:24], off
	v_fmac_f32_e32 v2, v8, v10
	v_fmac_f32_e32 v3, v9, v10
	s_cbranch_scc0 .LBB31_161
; %bb.162:                              ;   in Loop: Header=BB31_160 Depth=2
	s_inst_prefetch 0x2
	v_add_nc_u32_e32 v7, s31, v7
	v_add_nc_u32_e32 v6, s31, v6
	;; [unrolled: 1-line block ×3, first 2 shown]
	global_store_dwordx2 v[4:5], v[2:3], off
	v_cmp_le_i32_e32 vcc_lo, s26, v7
	s_or_b32 s59, vcc_lo, s59
	s_andn2_b32 exec_lo, exec_lo, s59
	s_cbranch_execnz .LBB31_160
.LBB31_163:                             ;   in Loop: Header=BB31_11 Depth=1
	s_or_b32 exec_lo, exec_lo, s47
	s_andn2_b32 vcc_lo, exec_lo, s79
	s_cbranch_vccnz .LBB31_10
.LBB31_164:                             ;   in Loop: Header=BB31_11 Depth=1
	s_and_saveexec_b32 s9, s6
	s_cbranch_execz .LBB31_9
; %bb.165:                              ;   in Loop: Header=BB31_11 Depth=1
	s_load_dword s53, s[28:29], 0xc
	s_lshl_b64 s[58:59], s[42:43], 3
	v_mov_b32_e32 v21, v15
	s_add_u32 s51, s38, s58
	s_addc_u32 s52, s39, s59
	s_add_i32 s31, s20, -1
	s_cmp_eq_u32 s46, 0
	v_mov_b32_e32 v22, v0
	s_cselect_b32 s8, s20, 0
	s_cselect_b32 s42, s31, 0
	s_ashr_i32 s31, s30, 31
	s_ashr_i32 s47, s46, 31
	s_lshl_b64 s[30:31], s[30:31], 2
	s_add_i32 s42, s42, s21
	v_add_nc_u32_e32 v1, s8, v15
	s_mov_b32 s50, 0
	s_waitcnt lgkmcnt(0)
	s_and_b32 s21, s53, 0xffff
	s_sub_u32 s30, s30, s44
	s_subb_u32 s31, s31, s45
	s_add_u32 s53, s30, 20
	s_addc_u32 s54, s31, 0
	s_ashr_i32 s43, s42, 31
	s_lshl_b64 s[30:31], s[48:49], 2
	s_lshl_b64 s[42:43], s[42:43], 2
	s_mul_i32 s48, s37, s21
	s_add_u32 s30, s30, s42
	s_addc_u32 s31, s31, s43
	s_add_u32 s30, s82, s30
	s_addc_u32 s31, s83, s31
	s_lshl_b32 s42, s46, 1
	s_lshl_b64 s[44:45], s[46:47], 1
	s_add_i32 s60, s42, -2
	s_ashr_i32 s46, s8, 31
	s_ashr_i32 s61, s60, 31
	s_lshl_b64 s[42:43], s[60:61], 2
	s_or_b32 s42, s42, 4
	s_add_u32 s49, s44, s8
	s_addc_u32 s55, s45, s46
	s_or_b32 s56, s60, 1
	s_add_u32 s57, s92, s58
	s_addc_u32 s58, s93, s59
	s_lshl_b64 s[44:45], s[60:61], 3
	s_mov_b32 s59, s61
	s_or_b32 s44, s44, 8
.LBB31_166:                             ;   Parent Loop BB31_11 Depth=1
                                        ; =>  This Loop Header: Depth=2
                                        ;       Child Loop BB31_167 Depth 3
	v_mad_u64_u32 v[2:3], null, v22, s37, s[8:9]
	v_ashrrev_i32_e32 v6, 31, v21
	s_mov_b64 s[46:47], s[30:31]
	s_mov_b32 s60, s20
	v_ashrrev_i32_e32 v3, 31, v2
	v_lshlrev_b64 v[2:3], 3, v[2:3]
	v_add_co_u32 v2, vcc_lo, s51, v2
	v_add_co_ci_u32_e64 v3, null, s52, v3, vcc_lo
	v_add_co_u32 v5, vcc_lo, s49, v21
	v_add_co_ci_u32_e64 v6, null, s55, v6, vcc_lo
	global_load_dwordx2 v[3:4], v[2:3], off
	v_ashrrev_i32_e32 v2, 31, v1
	v_lshlrev_b64 v[7:8], 3, v[1:2]
	v_add_co_u32 v7, vcc_lo, s57, v7
	v_add_co_ci_u32_e64 v8, null, s58, v8, vcc_lo
	s_inst_prefetch 0x1
	.p2align	6
.LBB31_167:                             ;   Parent Loop BB31_11 Depth=1
                                        ;     Parent Loop BB31_166 Depth=2
                                        ; =>    This Inner Loop Header: Depth=3
	v_lshlrev_b64 v[9:10], 3, v[5:6]
	s_add_u32 s62, s46, s53
	s_addc_u32 s63, s47, s54
	s_clause 0x1
	global_load_dword v2, v13, s[46:47] offset:16
	global_load_dword v27, v13, s[62:63]
	s_add_i32 s60, s60, -1
	v_add_co_u32 v9, vcc_lo, s51, v9
	v_add_co_ci_u32_e64 v10, null, s52, v10, vcc_lo
	v_add_co_u32 v5, vcc_lo, v5, s56
	v_add_co_ci_u32_e64 v6, null, s59, v6, vcc_lo
	global_load_dwordx2 v[23:24], v[9:10], off offset:-8
	s_add_u32 s46, s46, s42
	s_addc_u32 s47, s47, s43
	s_cmp_eq_u32 s60, 0
	s_waitcnt vmcnt(0)
	v_mul_f32_e32 v25, v23, v27
	v_mul_f32_e32 v26, v24, v27
	v_fma_f32 v25, v3, v2, -v25
	v_fma_f32 v26, v4, v2, -v26
	v_mul_f32_e32 v3, v3, v27
	v_mul_f32_e32 v4, v4, v27
	global_store_dwordx2 v[7:8], v[25:26], off offset:-4
	v_add_co_u32 v7, vcc_lo, v7, s44
	v_fmac_f32_e32 v3, v23, v2
	v_fmac_f32_e32 v4, v24, v2
	v_add_co_ci_u32_e64 v8, null, s45, v8, vcc_lo
	s_cbranch_scc0 .LBB31_167
; %bb.168:                              ;   in Loop: Header=BB31_166 Depth=2
	s_inst_prefetch 0x2
	v_add_nc_u32_e32 v22, s21, v22
	v_add_nc_u32_e32 v21, s48, v21
	;; [unrolled: 1-line block ×3, first 2 shown]
	global_store_dwordx2 v[9:10], v[3:4], off offset:-8
	v_cmp_le_i32_e32 vcc_lo, s27, v22
	s_or_b32 s50, vcc_lo, s50
	s_andn2_b32 exec_lo, exec_lo, s50
	s_cbranch_execnz .LBB31_166
	s_branch .LBB31_9
.LBB31_169:                             ;   in Loop: Header=BB31_11 Depth=1
	s_ashr_i32 s51, s50, 31
	s_lshl_b64 s[60:61], s[50:51], 2
	s_add_u32 s60, s64, s60
	s_addc_u32 s61, s65, s61
	global_load_dword v2, v13, s[60:61] offset:-4
	s_waitcnt vmcnt(0)
	v_mul_f32_e32 v3, v4, v2
	v_mul_f32_e64 v2, v2, -v5
	global_store_dword v13, v3, s[60:61] offset:-4
	s_and_b32 s8, s73, s81
	v_cndmask_b32_e64 v3, 0, 1, s8
	s_andn2_b32 vcc_lo, exec_lo, s8
	s_cbranch_vccnz .LBB31_113
.LBB31_170:                             ;   in Loop: Header=BB31_11 Depth=1
	s_add_u32 s60, s53, s62
	s_addc_u32 s61, s57, s63
	s_ashr_i32 s55, s54, 31
	s_lshl_b64 s[62:63], s[54:55], 2
	s_add_u32 s62, s60, s62
	s_addc_u32 s63, s61, s63
	global_store_dword v13, v4, s[60:61] offset:12
	global_store_dword v13, v5, s[62:63] offset:12
	s_xor_b32 s8, s95, -1
	s_or_b32 s8, s76, s8
	s_and_b32 vcc_lo, exec_lo, s8
	s_cbranch_vccz .LBB31_114
	s_branch .LBB31_115
.LBB31_171:
	s_endpgm
	.section	.rodata,"a",@progbits
	.p2align	6, 0x0
	.amdhsa_kernel _ZN9rocsolver6v33100L13bdsqr_computeILi256E19rocblas_complex_numIfEfPS3_S4_S4_EEviiiiPT1_lS6_lT2_iilT3_iilT4_iiliS5_S5_S5_S5_PiS6_ilSA_
		.amdhsa_group_segment_fixed_size 1040
		.amdhsa_private_segment_fixed_size 0
		.amdhsa_kernarg_size 440
		.amdhsa_user_sgpr_count 6
		.amdhsa_user_sgpr_private_segment_buffer 1
		.amdhsa_user_sgpr_dispatch_ptr 0
		.amdhsa_user_sgpr_queue_ptr 0
		.amdhsa_user_sgpr_kernarg_segment_ptr 1
		.amdhsa_user_sgpr_dispatch_id 0
		.amdhsa_user_sgpr_flat_scratch_init 0
		.amdhsa_user_sgpr_private_segment_size 0
		.amdhsa_wavefront_size32 1
		.amdhsa_uses_dynamic_stack 0
		.amdhsa_system_sgpr_private_segment_wavefront_offset 0
		.amdhsa_system_sgpr_workgroup_id_x 1
		.amdhsa_system_sgpr_workgroup_id_y 1
		.amdhsa_system_sgpr_workgroup_id_z 1
		.amdhsa_system_sgpr_workgroup_info 0
		.amdhsa_system_vgpr_workitem_id 0
		.amdhsa_next_free_vgpr 29
		.amdhsa_next_free_sgpr 105
		.amdhsa_reserve_vcc 1
		.amdhsa_reserve_flat_scratch 0
		.amdhsa_float_round_mode_32 0
		.amdhsa_float_round_mode_16_64 0
		.amdhsa_float_denorm_mode_32 3
		.amdhsa_float_denorm_mode_16_64 3
		.amdhsa_dx10_clamp 1
		.amdhsa_ieee_mode 1
		.amdhsa_fp16_overflow 0
		.amdhsa_workgroup_processor_mode 1
		.amdhsa_memory_ordered 1
		.amdhsa_forward_progress 1
		.amdhsa_shared_vgpr_count 0
		.amdhsa_exception_fp_ieee_invalid_op 0
		.amdhsa_exception_fp_denorm_src 0
		.amdhsa_exception_fp_ieee_div_zero 0
		.amdhsa_exception_fp_ieee_overflow 0
		.amdhsa_exception_fp_ieee_underflow 0
		.amdhsa_exception_fp_ieee_inexact 0
		.amdhsa_exception_int_div_zero 0
	.end_amdhsa_kernel
	.section	.text._ZN9rocsolver6v33100L13bdsqr_computeILi256E19rocblas_complex_numIfEfPS3_S4_S4_EEviiiiPT1_lS6_lT2_iilT3_iilT4_iiliS5_S5_S5_S5_PiS6_ilSA_,"axG",@progbits,_ZN9rocsolver6v33100L13bdsqr_computeILi256E19rocblas_complex_numIfEfPS3_S4_S4_EEviiiiPT1_lS6_lT2_iilT3_iilT4_iiliS5_S5_S5_S5_PiS6_ilSA_,comdat
.Lfunc_end31:
	.size	_ZN9rocsolver6v33100L13bdsqr_computeILi256E19rocblas_complex_numIfEfPS3_S4_S4_EEviiiiPT1_lS6_lT2_iilT3_iilT4_iiliS5_S5_S5_S5_PiS6_ilSA_, .Lfunc_end31-_ZN9rocsolver6v33100L13bdsqr_computeILi256E19rocblas_complex_numIfEfPS3_S4_S4_EEviiiiPT1_lS6_lT2_iilT3_iilT4_iiliS5_S5_S5_S5_PiS6_ilSA_
                                        ; -- End function
	.set _ZN9rocsolver6v33100L13bdsqr_computeILi256E19rocblas_complex_numIfEfPS3_S4_S4_EEviiiiPT1_lS6_lT2_iilT3_iilT4_iiliS5_S5_S5_S5_PiS6_ilSA_.num_vgpr, 29
	.set _ZN9rocsolver6v33100L13bdsqr_computeILi256E19rocblas_complex_numIfEfPS3_S4_S4_EEviiiiPT1_lS6_lT2_iilT3_iilT4_iiliS5_S5_S5_S5_PiS6_ilSA_.num_agpr, 0
	.set _ZN9rocsolver6v33100L13bdsqr_computeILi256E19rocblas_complex_numIfEfPS3_S4_S4_EEviiiiPT1_lS6_lT2_iilT3_iilT4_iiliS5_S5_S5_S5_PiS6_ilSA_.numbered_sgpr, 105
	.set _ZN9rocsolver6v33100L13bdsqr_computeILi256E19rocblas_complex_numIfEfPS3_S4_S4_EEviiiiPT1_lS6_lT2_iilT3_iilT4_iiliS5_S5_S5_S5_PiS6_ilSA_.num_named_barrier, 0
	.set _ZN9rocsolver6v33100L13bdsqr_computeILi256E19rocblas_complex_numIfEfPS3_S4_S4_EEviiiiPT1_lS6_lT2_iilT3_iilT4_iiliS5_S5_S5_S5_PiS6_ilSA_.private_seg_size, 0
	.set _ZN9rocsolver6v33100L13bdsqr_computeILi256E19rocblas_complex_numIfEfPS3_S4_S4_EEviiiiPT1_lS6_lT2_iilT3_iilT4_iiliS5_S5_S5_S5_PiS6_ilSA_.uses_vcc, 1
	.set _ZN9rocsolver6v33100L13bdsqr_computeILi256E19rocblas_complex_numIfEfPS3_S4_S4_EEviiiiPT1_lS6_lT2_iilT3_iilT4_iiliS5_S5_S5_S5_PiS6_ilSA_.uses_flat_scratch, 0
	.set _ZN9rocsolver6v33100L13bdsqr_computeILi256E19rocblas_complex_numIfEfPS3_S4_S4_EEviiiiPT1_lS6_lT2_iilT3_iilT4_iiliS5_S5_S5_S5_PiS6_ilSA_.has_dyn_sized_stack, 0
	.set _ZN9rocsolver6v33100L13bdsqr_computeILi256E19rocblas_complex_numIfEfPS3_S4_S4_EEviiiiPT1_lS6_lT2_iilT3_iilT4_iiliS5_S5_S5_S5_PiS6_ilSA_.has_recursion, 0
	.set _ZN9rocsolver6v33100L13bdsqr_computeILi256E19rocblas_complex_numIfEfPS3_S4_S4_EEviiiiPT1_lS6_lT2_iilT3_iilT4_iiliS5_S5_S5_S5_PiS6_ilSA_.has_indirect_call, 0
	.section	.AMDGPU.csdata,"",@progbits
; Kernel info:
; codeLenInByte = 8660
; TotalNumSgprs: 107
; NumVgprs: 29
; ScratchSize: 0
; MemoryBound: 0
; FloatMode: 240
; IeeeMode: 1
; LDSByteSize: 1040 bytes/workgroup (compile time only)
; SGPRBlocks: 0
; VGPRBlocks: 3
; NumSGPRsForWavesPerEU: 107
; NumVGPRsForWavesPerEU: 29
; Occupancy: 16
; WaveLimiterHint : 1
; COMPUTE_PGM_RSRC2:SCRATCH_EN: 0
; COMPUTE_PGM_RSRC2:USER_SGPR: 6
; COMPUTE_PGM_RSRC2:TRAP_HANDLER: 0
; COMPUTE_PGM_RSRC2:TGID_X_EN: 1
; COMPUTE_PGM_RSRC2:TGID_Y_EN: 1
; COMPUTE_PGM_RSRC2:TGID_Z_EN: 1
; COMPUTE_PGM_RSRC2:TIDIG_COMP_CNT: 0
	.section	.text._ZN9rocsolver6v33100L12bdsqr_rotateI19rocblas_complex_numIfEfPS3_S4_S4_EEviiiiT1_iilT2_iilT3_iiliPiPT0_ilS8_,"axG",@progbits,_ZN9rocsolver6v33100L12bdsqr_rotateI19rocblas_complex_numIfEfPS3_S4_S4_EEviiiiT1_iilT2_iilT3_iiliPiPT0_ilS8_,comdat
	.globl	_ZN9rocsolver6v33100L12bdsqr_rotateI19rocblas_complex_numIfEfPS3_S4_S4_EEviiiiT1_iilT2_iilT3_iiliPiPT0_ilS8_ ; -- Begin function _ZN9rocsolver6v33100L12bdsqr_rotateI19rocblas_complex_numIfEfPS3_S4_S4_EEviiiiT1_iilT2_iilT3_iiliPiPT0_ilS8_
	.p2align	8
	.type	_ZN9rocsolver6v33100L12bdsqr_rotateI19rocblas_complex_numIfEfPS3_S4_S4_EEviiiiT1_iilT2_iilT3_iiliPiPT0_ilS8_,@function
_ZN9rocsolver6v33100L12bdsqr_rotateI19rocblas_complex_numIfEfPS3_S4_S4_EEviiiiT1_iilT2_iilT3_iiliPiPT0_ilS8_: ; @_ZN9rocsolver6v33100L12bdsqr_rotateI19rocblas_complex_numIfEfPS3_S4_S4_EEviiiiT1_iilT2_iilT3_iiliPiPT0_ilS8_
; %bb.0:
	s_load_dwordx4 s[0:3], s[4:5], 0x78
	s_ashr_i32 s9, s8, 31
	s_lshl_b64 s[10:11], s[8:9], 2
	s_waitcnt lgkmcnt(0)
	s_add_u32 s2, s2, s10
	s_addc_u32 s3, s3, s11
	s_load_dword s2, s[2:3], 0x8
	s_waitcnt lgkmcnt(0)
	s_cmp_lg_u32 s2, 0
	s_cbranch_scc1 .LBB32_25
; %bb.1:
	s_load_dwordx8 s[12:19], s[4:5], 0x10
	s_add_u32 s24, s4, 0x88
	s_addc_u32 s25, s5, 0
	s_mov_b64 s[2:3], 0
	s_mov_b64 s[10:11], 0
	s_waitcnt lgkmcnt(0)
	s_cmp_eq_u64 s[12:13], 0
	s_cbranch_scc1 .LBB32_3
; %bb.2:
	s_mul_i32 s10, s16, s9
	s_mul_hi_u32 s11, s16, s8
	s_mul_i32 s17, s17, s8
	s_add_i32 s10, s11, s10
	s_add_i32 s11, s10, s17
	s_mul_i32 s10, s16, s8
	s_ashr_i32 s17, s14, 31
	s_lshl_b64 s[10:11], s[10:11], 3
	s_mov_b32 s16, s14
	s_add_u32 s12, s12, s10
	s_addc_u32 s13, s13, s11
	s_lshl_b64 s[10:11], s[16:17], 3
	s_add_u32 s10, s12, s10
	s_addc_u32 s11, s13, s11
.LBB32_3:
	s_clause 0x1
	s_load_dwordx2 s[12:13], s[4:5], 0x30
	s_load_dwordx4 s[20:23], s[4:5], 0x38
	s_cmp_eq_u64 s[18:19], 0
	s_cbranch_scc1 .LBB32_5
; %bb.4:
	s_waitcnt lgkmcnt(0)
	s_mul_i32 s2, s20, s9
	s_mul_hi_u32 s3, s20, s8
	s_mul_i32 s14, s21, s8
	s_add_i32 s2, s3, s2
	s_ashr_i32 s17, s12, 31
	s_add_i32 s3, s2, s14
	s_mul_i32 s2, s20, s8
	s_mov_b32 s16, s12
	s_lshl_b64 s[2:3], s[2:3], 3
	s_add_u32 s12, s18, s2
	s_addc_u32 s14, s19, s3
	s_lshl_b64 s[2:3], s[16:17], 3
	s_add_u32 s2, s12, s2
	s_addc_u32 s3, s14, s3
.LBB32_5:
	s_load_dwordx2 s[26:27], s[4:5], 0x48
	s_waitcnt lgkmcnt(0)
	s_cmp_eq_u64 s[22:23], 0
	s_mov_b64 s[20:21], 0
	s_cbranch_scc1 .LBB32_7
; %bb.6:
	s_load_dwordx2 s[16:17], s[4:5], 0x50
	s_ashr_i32 s19, s26, 31
	s_mov_b32 s18, s26
	s_waitcnt lgkmcnt(0)
	s_mul_i32 s12, s16, s9
	s_mul_hi_u32 s14, s16, s8
	s_mul_i32 s17, s17, s8
	s_add_i32 s12, s14, s12
	s_mul_i32 s16, s16, s8
	s_add_i32 s17, s12, s17
	s_lshl_b64 s[16:17], s[16:17], 3
	s_add_u32 s12, s22, s16
	s_addc_u32 s14, s23, s17
	s_lshl_b64 s[16:17], s[18:19], 3
	s_add_u32 s20, s12, s16
	s_addc_u32 s21, s14, s17
.LBB32_7:
	s_load_dwordx4 s[16:19], s[4:5], 0x60
	s_mul_i32 s9, s0, s9
	s_mul_hi_u32 s12, s0, s8
	s_mul_i32 s1, s1, s8
	s_add_i32 s9, s12, s9
	s_mul_i32 s0, s0, s8
	s_add_i32 s1, s9, s1
	s_lshl_b64 s[22:23], s[0:1], 2
	s_waitcnt lgkmcnt(0)
	s_add_u32 s0, s18, s22
	s_addc_u32 s1, s19, s23
	s_load_dword s0, s[0:1], 0x8
	s_waitcnt lgkmcnt(0)
	v_cvt_i32_f32_e32 v7, s0
	v_cmp_ge_i32_e32 vcc_lo, s7, v7
	s_cbranch_vccnz .LBB32_25
; %bb.8:
	s_clause 0x3
	s_load_dwordx4 s[36:39], s[4:5], 0x0
	s_load_dword s9, s[4:5], 0x94
	s_load_dword s12, s[4:5], 0x58
	s_load_dword s28, s[4:5], 0x70
	v_mov_b32_e32 v10, 0
	s_waitcnt lgkmcnt(0)
	s_mul_i32 s0, s8, s36
	s_lshl_b32 s0, s0, 1
	s_ashr_i32 s1, s0, 31
	s_lshl_b64 s[0:1], s[0:1], 2
	s_add_u32 s29, s16, s0
	s_addc_u32 s30, s17, s1
	s_and_b32 s0, 0xffff, s9
	s_cmp_eq_u32 s37, 0
	v_mad_u64_u32 v[0:1], null, s6, s0, v[0:1]
	s_load_dword s6, s[24:25], 0x4
	s_cselect_b32 s31, -1, 0
	s_cmp_lg_u64 s[10:11], 0
	s_cselect_b32 s1, -1, 0
	v_cmp_gt_i32_e32 vcc_lo, s37, v0
	v_cmp_gt_i32_e64 s0, s38, v0
	v_mul_lo_u32 v8, v0, s15
	v_mul_lo_u32 v9, v0, s27
	s_and_b32 s33, vcc_lo, s1
	s_cmp_lg_u64 s[2:3], 0
	v_cmp_gt_i32_e32 vcc_lo, s39, v0
	s_cselect_b32 s1, -1, 0
	s_and_b32 s34, s0, s1
	s_cmp_lg_u64 s[20:21], 0
	s_cselect_b32 s0, -1, 0
	s_and_b32 s35, vcc_lo, s0
	s_add_u32 s36, s18, s22
	s_addc_u32 s37, s19, s23
	s_branch .LBB32_12
.LBB32_9:                               ;   in Loop: Header=BB32_12 Depth=1
	s_inst_prefetch 0x2
	v_sub_co_u32 v3, vcc_lo, v5, s4
	v_subrev_co_ci_u32_e64 v4, null, s5, v6, vcc_lo
	v_add_co_u32 v3, vcc_lo, s14, v3
	v_add_co_ci_u32_e64 v4, null, s15, v4, vcc_lo
	global_store_dwordx2 v[3:4], v[1:2], off
.LBB32_10:                              ;   in Loop: Header=BB32_12 Depth=1
	s_or_b32 exec_lo, exec_lo, s18
.LBB32_11:                              ;   in Loop: Header=BB32_12 Depth=1
	s_waitcnt lgkmcnt(0)
	s_add_i32 s7, s6, s7
	v_cmp_lt_i32_e32 vcc_lo, s7, v7
	s_cbranch_vccz .LBB32_25
.LBB32_12:                              ; =>This Loop Header: Depth=1
                                        ;     Child Loop BB32_16 Depth 2
                                        ;     Child Loop BB32_20 Depth 2
	;; [unrolled: 1-line block ×3, first 2 shown]
	s_lshl_b32 s0, s7, 2
	s_ashr_i32 s1, s0, 31
	s_lshl_b64 s[0:1], s[0:1], 2
	s_add_u32 s0, s29, s0
	s_addc_u32 s1, s30, s1
	global_load_dwordx3 v[1:3], v10, s[0:1]
	s_waitcnt vmcnt(0)
	v_readfirstlane_b32 s14, v3
	v_readfirstlane_b32 s16, v2
	;; [unrolled: 1-line block ×3, first 2 shown]
	s_cmp_le_i32 s14, s16
	s_cbranch_scc1 .LBB32_11
; %bb.13:                               ;   in Loop: Header=BB32_12 Depth=1
	global_load_dword v1, v10, s[0:1] offset:12
	s_cmp_lg_u32 s4, 0
	s_cselect_b32 s0, -1, 0
	s_waitcnt vmcnt(0)
	v_cmp_gt_i32_e32 vcc_lo, s12, v1
	s_and_b32 s0, vcc_lo, s0
	s_andn2_b32 vcc_lo, exec_lo, s0
	s_cbranch_vccnz .LBB32_11
; %bb.14:                               ;   in Loop: Header=BB32_12 Depth=1
	s_mul_i32 s8, s16, s28
	s_ashr_i32 s9, s8, 31
	s_cmp_gt_i32 s4, 0
	s_cselect_b32 s38, -1, 0
	s_sub_i32 s0, s14, s16
	s_and_saveexec_b32 s1, s33
	s_cbranch_execz .LBB32_18
; %bb.15:                               ;   in Loop: Header=BB32_12 Depth=1
	s_and_b32 s5, s38, exec_lo
	s_cselect_b32 s5, s16, s14
	v_add_nc_u32_e32 v5, s5, v8
	s_add_i32 s5, s0, -1
	s_and_b32 s15, s38, exec_lo
	s_cselect_b32 s18, 0, s5
	s_ashr_i32 s5, s4, 31
	v_ashrrev_i32_e32 v6, 31, v5
	s_ashr_i32 s19, s18, 31
	s_lshl_b64 s[24:25], s[8:9], 2
	s_lshl_b64 s[22:23], s[18:19], 2
	;; [unrolled: 1-line block ×3, first 2 shown]
	v_lshlrev_b64 v[3:4], 3, v[5:6]
	v_add_nc_u32_e32 v5, s4, v5
	s_add_u32 s15, s22, s24
	s_addc_u32 s17, s23, s25
	s_add_u32 s22, s36, s15
	s_addc_u32 s23, s37, s17
	v_add_co_u32 v1, vcc_lo, s10, v3
	v_add_co_ci_u32_e64 v2, null, s11, v4, vcc_lo
	v_ashrrev_i32_e32 v6, 31, v5
	s_ashr_i32 s15, s14, 31
	s_ashr_i32 s17, s16, 31
	global_load_dwordx2 v[1:2], v[1:2], off
	s_lshl_b64 s[26:27], s[14:15], 2
	s_lshl_b64 s[40:41], s[16:17], 2
	v_lshlrev_b64 v[5:6], 3, v[5:6]
	s_lshl_b64 s[24:25], s[4:5], 2
	v_or_b32_e32 v3, 4, v3
	s_sub_u32 s5, s26, s40
	s_subb_u32 s15, s27, s41
	s_add_u32 s5, s5, 20
	s_addc_u32 s15, s15, 0
	s_mov_b32 s17, s0
	s_mov_b64 s[26:27], s[10:11]
	s_inst_prefetch 0x1
	.p2align	6
.LBB32_16:                              ;   Parent Loop BB32_12 Depth=1
                                        ; =>  This Inner Loop Header: Depth=2
	v_add_co_u32 v11, vcc_lo, s26, v5
	v_add_co_ci_u32_e64 v12, null, s27, v6, vcc_lo
	s_add_u32 s40, s22, s5
	s_addc_u32 s41, s23, s15
	s_clause 0x1
	global_load_dword v17, v10, s[22:23] offset:16
	global_load_dword v18, v10, s[40:41]
	global_load_dwordx2 v[11:12], v[11:12], off
	v_add_co_u32 v13, vcc_lo, s26, v3
	s_add_u32 s26, s26, s18
	v_add_co_ci_u32_e64 v14, null, s27, v4, vcc_lo
	s_addc_u32 s27, s27, s19
	s_add_i32 s17, s17, -1
	s_add_u32 s22, s22, s24
	s_addc_u32 s23, s23, s25
	s_cmp_eq_u32 s17, 0
	s_waitcnt vmcnt(0)
	v_mul_f32_e32 v15, v11, v18
	v_mul_f32_e32 v16, v12, v18
	v_fma_f32 v15, v1, v17, -v15
	v_fma_f32 v16, v2, v17, -v16
	v_mul_f32_e32 v1, v1, v18
	v_mul_f32_e32 v2, v2, v18
	global_store_dwordx2 v[13:14], v[15:16], off offset:-4
	v_fmac_f32_e32 v1, v11, v17
	v_fmac_f32_e32 v2, v12, v17
	s_cbranch_scc0 .LBB32_16
; %bb.17:                               ;   in Loop: Header=BB32_12 Depth=1
	s_inst_prefetch 0x2
	v_sub_co_u32 v3, vcc_lo, v5, s18
	v_subrev_co_ci_u32_e64 v4, null, s19, v6, vcc_lo
	v_add_co_u32 v3, vcc_lo, s26, v3
	v_add_co_ci_u32_e64 v4, null, s27, v4, vcc_lo
	global_store_dwordx2 v[3:4], v[1:2], off
.LBB32_18:                              ;   in Loop: Header=BB32_12 Depth=1
	s_or_b32 exec_lo, exec_lo, s1
	s_lshl_b32 s1, s0, 1
	s_add_i32 s1, s1, 2
	s_and_b32 s5, s31, exec_lo
	s_cselect_b32 s15, 0, s1
	s_and_saveexec_b32 s17, s34
	s_cbranch_execz .LBB32_22
; %bb.19:                               ;   in Loop: Header=BB32_12 Depth=1
	s_and_b32 s1, s38, exec_lo
	s_cselect_b32 s5, s16, s14
	s_add_i32 s1, s0, -1
	s_mul_i32 s24, s5, s13
	s_and_b32 s18, s38, exec_lo
	v_add_nc_u32_e32 v1, s24, v0
	s_cselect_b32 s18, 0, s1
	s_ashr_i32 s1, s0, 31
	s_add_i32 s18, s15, s18
	s_lshl_b64 s[22:23], s[0:1], 2
	v_ashrrev_i32_e32 v2, 31, v1
	s_add_i32 s5, s5, s4
	s_add_u32 s1, s22, 20
	s_addc_u32 s25, s23, 0
	s_ashr_i32 s19, s18, 31
	v_lshlrev_b64 v[1:2], 3, v[1:2]
	s_lshl_b64 s[22:23], s[8:9], 2
	s_lshl_b64 s[18:19], s[18:19], 2
	s_mul_i32 s26, s13, s5
	s_add_u32 s5, s22, s18
	s_addc_u32 s19, s23, s19
	v_add_co_u32 v1, vcc_lo, s2, v1
	v_add_co_ci_u32_e64 v2, null, s3, v2, vcc_lo
	s_add_u32 s18, s36, s5
	v_mov_b32_e32 v5, v0
	s_addc_u32 s19, s37, s19
	global_load_dwordx2 v[1:2], v[1:2], off
	s_ashr_i32 s5, s4, 31
	s_mul_i32 s27, s13, s4
	s_lshl_b64 s[22:23], s[4:5], 2
	s_mov_b32 s5, s0
	s_inst_prefetch 0x1
	.p2align	6
.LBB32_20:                              ;   Parent Loop BB32_12 Depth=1
                                        ; =>  This Inner Loop Header: Depth=2
	v_add_nc_u32_e32 v3, s26, v5
	s_add_u32 s40, s18, s1
	s_addc_u32 s41, s19, s25
	s_clause 0x1
	global_load_dword v6, v10, s[18:19] offset:16
	global_load_dword v17, v10, s[40:41]
	v_ashrrev_i32_e32 v4, 31, v3
	v_add_nc_u32_e32 v13, s24, v5
	v_add_nc_u32_e32 v5, s27, v5
	s_add_u32 s18, s18, s22
	s_addc_u32 s19, s19, s23
	v_lshlrev_b64 v[3:4], 3, v[3:4]
	v_ashrrev_i32_e32 v14, 31, v13
	s_add_i32 s5, s5, -1
	s_cmp_eq_u32 s5, 0
	v_lshlrev_b64 v[13:14], 3, v[13:14]
	v_add_co_u32 v3, vcc_lo, s2, v3
	v_add_co_ci_u32_e64 v4, null, s3, v4, vcc_lo
	v_add_co_u32 v13, vcc_lo, s2, v13
	global_load_dwordx2 v[11:12], v[3:4], off
	v_add_co_ci_u32_e64 v14, null, s3, v14, vcc_lo
	s_waitcnt vmcnt(0)
	v_mul_f32_e32 v15, v11, v17
	v_mul_f32_e32 v16, v12, v17
	v_fma_f32 v15, v1, v6, -v15
	v_fma_f32 v16, v2, v6, -v16
	v_mul_f32_e32 v1, v1, v17
	v_mul_f32_e32 v2, v2, v17
	global_store_dwordx2 v[13:14], v[15:16], off
	v_fmac_f32_e32 v1, v11, v6
	v_fmac_f32_e32 v2, v12, v6
	s_cbranch_scc0 .LBB32_20
; %bb.21:                               ;   in Loop: Header=BB32_12 Depth=1
	s_inst_prefetch 0x2
	global_store_dwordx2 v[3:4], v[1:2], off
.LBB32_22:                              ;   in Loop: Header=BB32_12 Depth=1
	s_or_b32 exec_lo, exec_lo, s17
	s_and_saveexec_b32 s18, s35
	s_cbranch_execz .LBB32_10
; %bb.23:                               ;   in Loop: Header=BB32_12 Depth=1
	s_and_b32 s1, s38, exec_lo
	s_cselect_b32 s1, s16, s14
	v_add_nc_u32_e32 v5, s1, v9
	s_add_i32 s1, s0, -1
	s_and_b32 s5, s38, exec_lo
	s_cselect_b32 s5, 0, s1
	s_ashr_i32 s1, s0, 31
	v_ashrrev_i32_e32 v6, 31, v5
	s_lshl_b64 s[16:17], s[0:1], 2
	s_add_i32 s14, s15, s5
	s_add_u32 s1, s16, 20
	s_addc_u32 s19, s17, 0
	v_lshlrev_b64 v[3:4], 3, v[5:6]
	v_add_nc_u32_e32 v5, s4, v5
	s_ashr_i32 s15, s14, 31
	s_lshl_b64 s[8:9], s[8:9], 2
	s_lshl_b64 s[14:15], s[14:15], 2
	v_ashrrev_i32_e32 v6, 31, v5
	v_add_co_u32 v1, vcc_lo, s20, v3
	v_add_co_ci_u32_e64 v2, null, s21, v4, vcc_lo
	s_add_u32 s5, s8, s14
	s_addc_u32 s9, s9, s15
	v_lshlrev_b64 v[5:6], 3, v[5:6]
	global_load_dwordx2 v[1:2], v[1:2], off
	s_add_u32 s8, s36, s5
	v_or_b32_e32 v3, 4, v3
	s_addc_u32 s9, s37, s9
	s_ashr_i32 s5, s4, 31
	s_mov_b64 s[14:15], s[20:21]
	s_lshl_b64 s[16:17], s[4:5], 2
	s_lshl_b64 s[4:5], s[4:5], 3
	s_inst_prefetch 0x1
	.p2align	6
.LBB32_24:                              ;   Parent Loop BB32_12 Depth=1
                                        ; =>  This Inner Loop Header: Depth=2
	v_add_co_u32 v11, vcc_lo, s14, v5
	v_add_co_ci_u32_e64 v12, null, s15, v6, vcc_lo
	s_add_u32 s22, s8, s1
	s_addc_u32 s23, s9, s19
	s_clause 0x1
	global_load_dword v17, v10, s[8:9] offset:16
	global_load_dword v18, v10, s[22:23]
	global_load_dwordx2 v[11:12], v[11:12], off
	v_add_co_u32 v13, vcc_lo, s14, v3
	s_add_i32 s0, s0, -1
	s_add_u32 s8, s8, s16
	v_add_co_ci_u32_e64 v14, null, s15, v4, vcc_lo
	s_addc_u32 s9, s9, s17
	s_add_u32 s14, s14, s4
	s_addc_u32 s15, s15, s5
	s_cmp_eq_u32 s0, 0
	s_waitcnt vmcnt(0)
	v_mul_f32_e32 v15, v11, v18
	v_mul_f32_e32 v16, v12, v18
	v_fma_f32 v15, v1, v17, -v15
	v_fma_f32 v16, v2, v17, -v16
	v_mul_f32_e32 v1, v1, v18
	v_mul_f32_e32 v2, v2, v18
	global_store_dwordx2 v[13:14], v[15:16], off offset:-4
	v_fmac_f32_e32 v1, v11, v17
	v_fmac_f32_e32 v2, v12, v17
	s_cbranch_scc0 .LBB32_24
	s_branch .LBB32_9
.LBB32_25:
	s_endpgm
	.section	.rodata,"a",@progbits
	.p2align	6, 0x0
	.amdhsa_kernel _ZN9rocsolver6v33100L12bdsqr_rotateI19rocblas_complex_numIfEfPS3_S4_S4_EEviiiiT1_iilT2_iilT3_iiliPiPT0_ilS8_
		.amdhsa_group_segment_fixed_size 0
		.amdhsa_private_segment_fixed_size 0
		.amdhsa_kernarg_size 392
		.amdhsa_user_sgpr_count 6
		.amdhsa_user_sgpr_private_segment_buffer 1
		.amdhsa_user_sgpr_dispatch_ptr 0
		.amdhsa_user_sgpr_queue_ptr 0
		.amdhsa_user_sgpr_kernarg_segment_ptr 1
		.amdhsa_user_sgpr_dispatch_id 0
		.amdhsa_user_sgpr_flat_scratch_init 0
		.amdhsa_user_sgpr_private_segment_size 0
		.amdhsa_wavefront_size32 1
		.amdhsa_uses_dynamic_stack 0
		.amdhsa_system_sgpr_private_segment_wavefront_offset 0
		.amdhsa_system_sgpr_workgroup_id_x 1
		.amdhsa_system_sgpr_workgroup_id_y 1
		.amdhsa_system_sgpr_workgroup_id_z 1
		.amdhsa_system_sgpr_workgroup_info 0
		.amdhsa_system_vgpr_workitem_id 0
		.amdhsa_next_free_vgpr 19
		.amdhsa_next_free_sgpr 42
		.amdhsa_reserve_vcc 1
		.amdhsa_reserve_flat_scratch 0
		.amdhsa_float_round_mode_32 0
		.amdhsa_float_round_mode_16_64 0
		.amdhsa_float_denorm_mode_32 3
		.amdhsa_float_denorm_mode_16_64 3
		.amdhsa_dx10_clamp 1
		.amdhsa_ieee_mode 1
		.amdhsa_fp16_overflow 0
		.amdhsa_workgroup_processor_mode 1
		.amdhsa_memory_ordered 1
		.amdhsa_forward_progress 1
		.amdhsa_shared_vgpr_count 0
		.amdhsa_exception_fp_ieee_invalid_op 0
		.amdhsa_exception_fp_denorm_src 0
		.amdhsa_exception_fp_ieee_div_zero 0
		.amdhsa_exception_fp_ieee_overflow 0
		.amdhsa_exception_fp_ieee_underflow 0
		.amdhsa_exception_fp_ieee_inexact 0
		.amdhsa_exception_int_div_zero 0
	.end_amdhsa_kernel
	.section	.text._ZN9rocsolver6v33100L12bdsqr_rotateI19rocblas_complex_numIfEfPS3_S4_S4_EEviiiiT1_iilT2_iilT3_iiliPiPT0_ilS8_,"axG",@progbits,_ZN9rocsolver6v33100L12bdsqr_rotateI19rocblas_complex_numIfEfPS3_S4_S4_EEviiiiT1_iilT2_iilT3_iiliPiPT0_ilS8_,comdat
.Lfunc_end32:
	.size	_ZN9rocsolver6v33100L12bdsqr_rotateI19rocblas_complex_numIfEfPS3_S4_S4_EEviiiiT1_iilT2_iilT3_iiliPiPT0_ilS8_, .Lfunc_end32-_ZN9rocsolver6v33100L12bdsqr_rotateI19rocblas_complex_numIfEfPS3_S4_S4_EEviiiiT1_iilT2_iilT3_iiliPiPT0_ilS8_
                                        ; -- End function
	.set _ZN9rocsolver6v33100L12bdsqr_rotateI19rocblas_complex_numIfEfPS3_S4_S4_EEviiiiT1_iilT2_iilT3_iiliPiPT0_ilS8_.num_vgpr, 19
	.set _ZN9rocsolver6v33100L12bdsqr_rotateI19rocblas_complex_numIfEfPS3_S4_S4_EEviiiiT1_iilT2_iilT3_iiliPiPT0_ilS8_.num_agpr, 0
	.set _ZN9rocsolver6v33100L12bdsqr_rotateI19rocblas_complex_numIfEfPS3_S4_S4_EEviiiiT1_iilT2_iilT3_iiliPiPT0_ilS8_.numbered_sgpr, 42
	.set _ZN9rocsolver6v33100L12bdsqr_rotateI19rocblas_complex_numIfEfPS3_S4_S4_EEviiiiT1_iilT2_iilT3_iiliPiPT0_ilS8_.num_named_barrier, 0
	.set _ZN9rocsolver6v33100L12bdsqr_rotateI19rocblas_complex_numIfEfPS3_S4_S4_EEviiiiT1_iilT2_iilT3_iiliPiPT0_ilS8_.private_seg_size, 0
	.set _ZN9rocsolver6v33100L12bdsqr_rotateI19rocblas_complex_numIfEfPS3_S4_S4_EEviiiiT1_iilT2_iilT3_iiliPiPT0_ilS8_.uses_vcc, 1
	.set _ZN9rocsolver6v33100L12bdsqr_rotateI19rocblas_complex_numIfEfPS3_S4_S4_EEviiiiT1_iilT2_iilT3_iiliPiPT0_ilS8_.uses_flat_scratch, 0
	.set _ZN9rocsolver6v33100L12bdsqr_rotateI19rocblas_complex_numIfEfPS3_S4_S4_EEviiiiT1_iilT2_iilT3_iiliPiPT0_ilS8_.has_dyn_sized_stack, 0
	.set _ZN9rocsolver6v33100L12bdsqr_rotateI19rocblas_complex_numIfEfPS3_S4_S4_EEviiiiT1_iilT2_iilT3_iiliPiPT0_ilS8_.has_recursion, 0
	.set _ZN9rocsolver6v33100L12bdsqr_rotateI19rocblas_complex_numIfEfPS3_S4_S4_EEviiiiT1_iilT2_iilT3_iiliPiPT0_ilS8_.has_indirect_call, 0
	.section	.AMDGPU.csdata,"",@progbits
; Kernel info:
; codeLenInByte = 1884
; TotalNumSgprs: 44
; NumVgprs: 19
; ScratchSize: 0
; MemoryBound: 0
; FloatMode: 240
; IeeeMode: 1
; LDSByteSize: 0 bytes/workgroup (compile time only)
; SGPRBlocks: 0
; VGPRBlocks: 2
; NumSGPRsForWavesPerEU: 44
; NumVGPRsForWavesPerEU: 19
; Occupancy: 16
; WaveLimiterHint : 1
; COMPUTE_PGM_RSRC2:SCRATCH_EN: 0
; COMPUTE_PGM_RSRC2:USER_SGPR: 6
; COMPUTE_PGM_RSRC2:TRAP_HANDLER: 0
; COMPUTE_PGM_RSRC2:TGID_X_EN: 1
; COMPUTE_PGM_RSRC2:TGID_Y_EN: 1
; COMPUTE_PGM_RSRC2:TGID_Z_EN: 1
; COMPUTE_PGM_RSRC2:TIDIG_COMP_CNT: 0
	.section	.text._ZN9rocsolver6v33100L22bdsqr_update_endpointsI19rocblas_complex_numIfEfEEviPT0_lPiS5_lS6_,"axG",@progbits,_ZN9rocsolver6v33100L22bdsqr_update_endpointsI19rocblas_complex_numIfEfEEviPT0_lPiS5_lS6_,comdat
	.globl	_ZN9rocsolver6v33100L22bdsqr_update_endpointsI19rocblas_complex_numIfEfEEviPT0_lPiS5_lS6_ ; -- Begin function _ZN9rocsolver6v33100L22bdsqr_update_endpointsI19rocblas_complex_numIfEfEEviPT0_lPiS5_lS6_
	.p2align	8
	.type	_ZN9rocsolver6v33100L22bdsqr_update_endpointsI19rocblas_complex_numIfEfEEviPT0_lPiS5_lS6_,@function
_ZN9rocsolver6v33100L22bdsqr_update_endpointsI19rocblas_complex_numIfEfEEviPT0_lPiS5_lS6_: ; @_ZN9rocsolver6v33100L22bdsqr_update_endpointsI19rocblas_complex_numIfEfEEviPT0_lPiS5_lS6_
; %bb.0:
	s_load_dwordx4 s[0:3], s[4:5], 0x28
	s_ashr_i32 s9, s8, 31
	s_lshl_b64 s[10:11], s[8:9], 2
	s_waitcnt lgkmcnt(0)
	s_add_u32 s2, s2, s10
	s_addc_u32 s3, s3, s11
	s_load_dword s2, s[2:3], 0x8
	s_waitcnt lgkmcnt(0)
	s_cmp_lg_u32 s2, 0
	s_cbranch_scc1 .LBB33_31
; %bb.1:
	s_load_dwordx8 s[12:19], s[4:5], 0x8
	s_mul_i32 s2, s0, s9
	s_mul_hi_u32 s3, s0, s8
	s_mul_i32 s1, s1, s8
	s_add_i32 s2, s3, s2
	s_mul_i32 s0, s0, s8
	s_add_i32 s1, s2, s1
	s_lshl_b64 s[0:1], s[0:1], 2
	s_waitcnt lgkmcnt(0)
	s_add_u32 s2, s18, s0
	s_addc_u32 s3, s19, s1
	s_load_dwordx2 s[10:11], s[2:3], 0x4
	s_waitcnt lgkmcnt(0)
	v_cvt_i32_f32_e32 v4, s11
	v_cmp_ge_i32_e32 vcc_lo, s7, v4
	s_cbranch_vccnz .LBB33_31
; %bb.2:
	s_load_dword s18, s[4:5], 0x0
	s_mul_i32 s1, s14, s9
	s_mul_hi_u32 s6, s14, s8
	s_mul_i32 s9, s15, s8
	s_add_i32 s1, s6, s1
	s_load_dword s6, s[4:5], 0x3c
	s_mul_i32 s0, s14, s8
	s_add_i32 s1, s1, s9
	v_cvt_f32_i32_e32 v5, v4
	s_lshl_b64 s[0:1], s[0:1], 2
	v_mov_b32_e32 v6, 0
	s_add_u32 s11, s12, s0
	s_waitcnt lgkmcnt(0)
	s_mul_i32 s0, s8, s18
	s_addc_u32 s18, s13, s1
	s_lshl_b32 s0, s0, 1
	s_ashr_i32 s1, s0, 31
	s_lshl_b64 s[0:1], s[0:1], 2
	s_add_u32 s19, s16, s0
	s_addc_u32 s20, s17, s1
	s_add_u32 s21, s11, -4
	s_addc_u32 s22, s18, -1
	s_branch .LBB33_5
.LBB33_3:                               ;   in Loop: Header=BB33_5 Depth=1
	s_mov_b32 s8, s12
.LBB33_4:                               ;   in Loop: Header=BB33_5 Depth=1
	s_add_i32 s7, s6, s7
	v_mov_b32_e32 v0, s8
	v_cmp_lt_i32_e32 vcc_lo, s7, v4
	v_mov_b32_e32 v1, s13
	global_store_dwordx2 v6, v[0:1], s[4:5] offset:4
	s_cbranch_vccz .LBB33_31
.LBB33_5:                               ; =>This Loop Header: Depth=1
                                        ;     Child Loop BB33_10 Depth 2
                                        ;     Child Loop BB33_15 Depth 2
	;; [unrolled: 1-line block ×3, first 2 shown]
                                        ;       Child Loop BB33_29 Depth 3
	s_lshl_b32 s0, s7, 2
	s_ashr_i32 s1, s0, 31
	s_lshl_b64 s[0:1], s[0:1], 2
	s_add_u32 s4, s19, s0
	s_addc_u32 s5, s20, s1
	global_load_dwordx4 v[0:3], v6, s[4:5]
	s_waitcnt vmcnt(0)
	v_cmp_eq_u32_e64 s0, 0, v0
	v_readfirstlane_b32 s14, v1
	v_readfirstlane_b32 s12, v2
	s_and_b32 vcc_lo, exec_lo, s0
	s_cbranch_vccnz .LBB33_7
; %bb.6:                                ;   in Loop: Header=BB33_5 Depth=1
	s_sub_i32 s1, s12, s14
	v_add_nc_u32_e32 v3, s1, v3
	global_store_dword v6, v3, s[4:5] offset:12
.LBB33_7:                               ;   in Loop: Header=BB33_5 Depth=1
	s_cmp_le_i32 s12, s14
	s_cbranch_scc1 .LBB33_17
; %bb.8:                                ;   in Loop: Header=BB33_5 Depth=1
	s_ashr_i32 s15, s14, 31
	s_lshl_b64 s[8:9], s[14:15], 2
	s_add_u32 s16, s11, s8
	s_addc_u32 s17, s18, s9
	s_branch .LBB33_10
	.p2align	6
.LBB33_9:                               ;   in Loop: Header=BB33_10 Depth=2
	s_add_i32 s14, s14, 1
	global_store_dword v6, v6, s[16:17]
	s_add_u32 s16, s16, 4
	s_addc_u32 s17, s17, 0
	s_cmp_ge_i32 s14, s12
	s_mov_b32 s8, s12
	s_cselect_b32 s1, -1, 0
	s_andn2_b32 vcc_lo, exec_lo, s1
	s_cbranch_vccz .LBB33_12
.LBB33_10:                              ;   Parent Loop BB33_5 Depth=1
                                        ; =>  This Inner Loop Header: Depth=2
	global_load_dword v0, v6, s[16:17]
	s_waitcnt vmcnt(0)
	v_cmp_nlt_f32_e64 s1, |v0|, s10
	s_and_b32 vcc_lo, exec_lo, s1
	s_mov_b32 s1, -1
	s_cbranch_vccz .LBB33_9
; %bb.11:                               ;   in Loop: Header=BB33_10 Depth=2
	s_mov_b32 s8, s14
                                        ; implicit-def: $sgpr14
                                        ; implicit-def: $sgpr16_sgpr17
	s_andn2_b32 vcc_lo, exec_lo, s1
	s_cbranch_vccnz .LBB33_10
.LBB33_12:                              ;   in Loop: Header=BB33_5 Depth=1
	s_cmp_le_i32 s12, s8
	s_cbranch_scc1 .LBB33_18
.LBB33_13:                              ;   in Loop: Header=BB33_5 Depth=1
	s_ashr_i32 s13, s12, 31
	s_lshl_b64 s[14:15], s[12:13], 2
	s_add_u32 s14, s21, s14
	s_addc_u32 s15, s22, s15
	s_branch .LBB33_15
	.p2align	6
.LBB33_14:                              ;   in Loop: Header=BB33_15 Depth=2
	s_add_i32 s12, s12, -1
	global_store_dword v6, v6, s[14:15]
	s_add_u32 s14, s14, -4
	s_addc_u32 s15, s15, -1
	s_cmp_le_i32 s12, s8
	s_mov_b32 s13, s8
	s_cselect_b32 s1, -1, 0
	s_andn2_b32 vcc_lo, exec_lo, s1
	s_cbranch_vccz .LBB33_19
.LBB33_15:                              ;   Parent Loop BB33_5 Depth=1
                                        ; =>  This Inner Loop Header: Depth=2
	global_load_dword v0, v6, s[14:15]
	s_waitcnt vmcnt(0)
	v_cmp_nlt_f32_e64 s1, |v0|, s10
	s_and_b32 vcc_lo, exec_lo, s1
	s_mov_b32 s1, -1
	s_cbranch_vccz .LBB33_14
; %bb.16:                               ;   in Loop: Header=BB33_15 Depth=2
	s_mov_b32 s13, s12
                                        ; implicit-def: $sgpr12
                                        ; implicit-def: $sgpr14_sgpr15
	s_andn2_b32 vcc_lo, exec_lo, s1
	s_cbranch_vccnz .LBB33_15
	s_branch .LBB33_19
.LBB33_17:                              ;   in Loop: Header=BB33_5 Depth=1
	s_mov_b32 s8, s14
	s_cmp_le_i32 s12, s8
	s_cbranch_scc0 .LBB33_13
.LBB33_18:                              ;   in Loop: Header=BB33_5 Depth=1
	s_mov_b32 s13, s12
.LBB33_19:                              ;   in Loop: Header=BB33_5 Depth=1
	s_cmp_lt_i32 s8, s13
	s_mov_b32 s12, s8
	s_cselect_b32 s1, -1, 0
	s_and_b32 s0, s0, s1
	s_andn2_b32 vcc_lo, exec_lo, s0
	s_cbranch_vccz .LBB33_23
	s_branch .LBB33_4
.LBB33_20:                              ;   in Loop: Header=BB33_23 Depth=2
	s_or_b32 exec_lo, exec_lo, s9
.LBB33_21:                              ;   in Loop: Header=BB33_23 Depth=2
	s_or_b32 exec_lo, exec_lo, s1
	v_readfirstlane_b32 s0, v1
	v_cvt_f32_ubyte0_e32 v0, v0
	v_mov_b32_e32 v2, s8
	v_add_f32_e32 v0, s0, v0
	v_cndmask_b32_e64 v0, v0, s0, vcc_lo
	v_add_f32_e32 v0, v0, v5
	v_cvt_i32_f32_e32 v0, v0
	v_lshlrev_b32_e32 v0, 2, v0
	v_ashrrev_i32_e32 v1, 31, v0
	v_lshlrev_b64 v[7:8], 2, v[0:1]
	v_mov_b32_e32 v1, s12
	v_add_co_u32 v7, vcc_lo, s19, v7
	v_add_co_ci_u32_e64 v8, null, s20, v8, vcc_lo
	global_store_dwordx3 v[7:8], v[1:3], off offset:4
.LBB33_22:                              ;   in Loop: Header=BB33_23 Depth=2
	s_add_i32 s12, s8, 1
	s_mov_b32 s8, s12
	s_cmp_lt_i32 s8, s13
	s_cbranch_scc0 .LBB33_3
.LBB33_23:                              ;   Parent Loop BB33_5 Depth=1
                                        ; =>  This Loop Header: Depth=2
                                        ;       Child Loop BB33_29 Depth 3
	s_ashr_i32 s9, s8, 31
	s_mov_b32 s14, -1
	s_lshl_b64 s[0:1], s[8:9], 2
	s_add_u32 s0, s11, s0
	s_addc_u32 s1, s18, s1
	global_load_dword v0, v6, s[0:1]
	s_waitcnt vmcnt(0)
	v_cmp_lt_f32_e64 s9, |v0|, s10
	s_and_b32 vcc_lo, exec_lo, s9
                                        ; implicit-def: $sgpr9
	s_cbranch_vccnz .LBB33_25
; %bb.24:                               ;   in Loop: Header=BB33_23 Depth=2
	s_add_i32 s9, s8, 1
	s_mov_b32 s14, 0
.LBB33_25:                              ;   in Loop: Header=BB33_23 Depth=2
	s_andn2_b32 vcc_lo, exec_lo, s14
	s_cbranch_vccnz .LBB33_30
; %bb.26:                               ;   in Loop: Header=BB33_23 Depth=2
	s_cmp_ge_i32 s12, s8
	global_store_dword v6, v6, s[0:1]
	s_cbranch_scc1 .LBB33_22
; %bb.27:                               ;   in Loop: Header=BB33_23 Depth=2
	s_mov_b32 s0, exec_lo
                                        ; implicit-def: $vgpr1
	v_mbcnt_lo_u32_b32 v0, s0, 0
	v_cmp_eq_u32_e32 vcc_lo, 0, v0
	s_and_saveexec_b32 s1, vcc_lo
	s_cbranch_execz .LBB33_21
; %bb.28:                               ;   in Loop: Header=BB33_23 Depth=2
	global_load_dword v1, v6, s[2:3] offset:12
	s_bcnt1_i32_b32 s0, s0
	s_mov_b32 s9, 0
	v_cvt_f32_ubyte0_e32 v2, s0
.LBB33_29:                              ;   Parent Loop BB33_5 Depth=1
                                        ;     Parent Loop BB33_23 Depth=2
                                        ; =>    This Inner Loop Header: Depth=3
	s_waitcnt vmcnt(0)
	v_mov_b32_e32 v8, v1
	v_add_f32_e32 v7, v8, v2
	global_atomic_cmpswap v1, v6, v[7:8], s[2:3] offset:12 glc
	s_waitcnt vmcnt(0)
	v_cmp_eq_u32_e64 s0, v1, v8
	s_or_b32 s9, s0, s9
	s_andn2_b32 exec_lo, exec_lo, s9
	s_cbranch_execnz .LBB33_29
	s_branch .LBB33_20
.LBB33_30:                              ;   in Loop: Header=BB33_23 Depth=2
	s_mov_b32 s8, s9
	s_cmp_lt_i32 s8, s13
	s_cbranch_scc1 .LBB33_23
	s_branch .LBB33_3
.LBB33_31:
	s_endpgm
	.section	.rodata,"a",@progbits
	.p2align	6, 0x0
	.amdhsa_kernel _ZN9rocsolver6v33100L22bdsqr_update_endpointsI19rocblas_complex_numIfEfEEviPT0_lPiS5_lS6_
		.amdhsa_group_segment_fixed_size 0
		.amdhsa_private_segment_fixed_size 0
		.amdhsa_kernarg_size 312
		.amdhsa_user_sgpr_count 6
		.amdhsa_user_sgpr_private_segment_buffer 1
		.amdhsa_user_sgpr_dispatch_ptr 0
		.amdhsa_user_sgpr_queue_ptr 0
		.amdhsa_user_sgpr_kernarg_segment_ptr 1
		.amdhsa_user_sgpr_dispatch_id 0
		.amdhsa_user_sgpr_flat_scratch_init 0
		.amdhsa_user_sgpr_private_segment_size 0
		.amdhsa_wavefront_size32 1
		.amdhsa_uses_dynamic_stack 0
		.amdhsa_system_sgpr_private_segment_wavefront_offset 0
		.amdhsa_system_sgpr_workgroup_id_x 1
		.amdhsa_system_sgpr_workgroup_id_y 1
		.amdhsa_system_sgpr_workgroup_id_z 1
		.amdhsa_system_sgpr_workgroup_info 0
		.amdhsa_system_vgpr_workitem_id 0
		.amdhsa_next_free_vgpr 9
		.amdhsa_next_free_sgpr 23
		.amdhsa_reserve_vcc 1
		.amdhsa_reserve_flat_scratch 0
		.amdhsa_float_round_mode_32 0
		.amdhsa_float_round_mode_16_64 0
		.amdhsa_float_denorm_mode_32 3
		.amdhsa_float_denorm_mode_16_64 3
		.amdhsa_dx10_clamp 1
		.amdhsa_ieee_mode 1
		.amdhsa_fp16_overflow 0
		.amdhsa_workgroup_processor_mode 1
		.amdhsa_memory_ordered 1
		.amdhsa_forward_progress 1
		.amdhsa_shared_vgpr_count 0
		.amdhsa_exception_fp_ieee_invalid_op 0
		.amdhsa_exception_fp_denorm_src 0
		.amdhsa_exception_fp_ieee_div_zero 0
		.amdhsa_exception_fp_ieee_overflow 0
		.amdhsa_exception_fp_ieee_underflow 0
		.amdhsa_exception_fp_ieee_inexact 0
		.amdhsa_exception_int_div_zero 0
	.end_amdhsa_kernel
	.section	.text._ZN9rocsolver6v33100L22bdsqr_update_endpointsI19rocblas_complex_numIfEfEEviPT0_lPiS5_lS6_,"axG",@progbits,_ZN9rocsolver6v33100L22bdsqr_update_endpointsI19rocblas_complex_numIfEfEEviPT0_lPiS5_lS6_,comdat
.Lfunc_end33:
	.size	_ZN9rocsolver6v33100L22bdsqr_update_endpointsI19rocblas_complex_numIfEfEEviPT0_lPiS5_lS6_, .Lfunc_end33-_ZN9rocsolver6v33100L22bdsqr_update_endpointsI19rocblas_complex_numIfEfEEviPT0_lPiS5_lS6_
                                        ; -- End function
	.set _ZN9rocsolver6v33100L22bdsqr_update_endpointsI19rocblas_complex_numIfEfEEviPT0_lPiS5_lS6_.num_vgpr, 9
	.set _ZN9rocsolver6v33100L22bdsqr_update_endpointsI19rocblas_complex_numIfEfEEviPT0_lPiS5_lS6_.num_agpr, 0
	.set _ZN9rocsolver6v33100L22bdsqr_update_endpointsI19rocblas_complex_numIfEfEEviPT0_lPiS5_lS6_.numbered_sgpr, 23
	.set _ZN9rocsolver6v33100L22bdsqr_update_endpointsI19rocblas_complex_numIfEfEEviPT0_lPiS5_lS6_.num_named_barrier, 0
	.set _ZN9rocsolver6v33100L22bdsqr_update_endpointsI19rocblas_complex_numIfEfEEviPT0_lPiS5_lS6_.private_seg_size, 0
	.set _ZN9rocsolver6v33100L22bdsqr_update_endpointsI19rocblas_complex_numIfEfEEviPT0_lPiS5_lS6_.uses_vcc, 1
	.set _ZN9rocsolver6v33100L22bdsqr_update_endpointsI19rocblas_complex_numIfEfEEviPT0_lPiS5_lS6_.uses_flat_scratch, 0
	.set _ZN9rocsolver6v33100L22bdsqr_update_endpointsI19rocblas_complex_numIfEfEEviPT0_lPiS5_lS6_.has_dyn_sized_stack, 0
	.set _ZN9rocsolver6v33100L22bdsqr_update_endpointsI19rocblas_complex_numIfEfEEviPT0_lPiS5_lS6_.has_recursion, 0
	.set _ZN9rocsolver6v33100L22bdsqr_update_endpointsI19rocblas_complex_numIfEfEEviPT0_lPiS5_lS6_.has_indirect_call, 0
	.section	.AMDGPU.csdata,"",@progbits
; Kernel info:
; codeLenInByte = 936
; TotalNumSgprs: 25
; NumVgprs: 9
; ScratchSize: 0
; MemoryBound: 0
; FloatMode: 240
; IeeeMode: 1
; LDSByteSize: 0 bytes/workgroup (compile time only)
; SGPRBlocks: 0
; VGPRBlocks: 1
; NumSGPRsForWavesPerEU: 25
; NumVGPRsForWavesPerEU: 9
; Occupancy: 16
; WaveLimiterHint : 1
; COMPUTE_PGM_RSRC2:SCRATCH_EN: 0
; COMPUTE_PGM_RSRC2:USER_SGPR: 6
; COMPUTE_PGM_RSRC2:TRAP_HANDLER: 0
; COMPUTE_PGM_RSRC2:TGID_X_EN: 1
; COMPUTE_PGM_RSRC2:TGID_Y_EN: 1
; COMPUTE_PGM_RSRC2:TGID_Z_EN: 1
; COMPUTE_PGM_RSRC2:TIDIG_COMP_CNT: 0
	.section	.text._ZN9rocsolver6v33100L19bdsqr_chk_completedI19rocblas_complex_numIfEfEEviiPiPT0_lS4_,"axG",@progbits,_ZN9rocsolver6v33100L19bdsqr_chk_completedI19rocblas_complex_numIfEfEEviiPiPT0_lS4_,comdat
	.globl	_ZN9rocsolver6v33100L19bdsqr_chk_completedI19rocblas_complex_numIfEfEEviiPiPT0_lS4_ ; -- Begin function _ZN9rocsolver6v33100L19bdsqr_chk_completedI19rocblas_complex_numIfEfEEviiPiPT0_lS4_
	.p2align	8
	.type	_ZN9rocsolver6v33100L19bdsqr_chk_completedI19rocblas_complex_numIfEfEEviiPiPT0_lS4_,@function
_ZN9rocsolver6v33100L19bdsqr_chk_completedI19rocblas_complex_numIfEfEEviiPiPT0_lS4_: ; @_ZN9rocsolver6v33100L19bdsqr_chk_completedI19rocblas_complex_numIfEfEEviiPiPT0_lS4_
; %bb.0:
	s_load_dwordx8 s[8:15], s[4:5], 0x8
	s_mov_b32 s6, s7
	s_ashr_i32 s7, s7, 31
	s_lshl_b64 s[0:1], s[6:7], 2
	s_waitcnt lgkmcnt(0)
	s_add_u32 s0, s14, s0
	s_addc_u32 s1, s15, s1
	s_load_dword s2, s[0:1], 0x8
	s_waitcnt lgkmcnt(0)
	s_cmp_lg_u32 s2, 0
	s_cbranch_scc0 .LBB34_2
.LBB34_1:
	s_endpgm
.LBB34_2:
	s_mul_i32 s2, s12, s7
	s_mul_hi_u32 s3, s12, s6
	s_mul_i32 s7, s13, s6
	s_add_i32 s2, s3, s2
	v_mov_b32_e32 v2, 0
	s_add_i32 s3, s2, s7
	s_mul_i32 s2, s12, s6
	s_lshl_b64 s[2:3], s[2:3], 2
	s_add_u32 s10, s10, s2
	s_addc_u32 s11, s11, s3
	s_load_dwordx2 s[12:13], s[10:11], 0x8
	s_load_dword s2, s[14:15], 0x4
	s_waitcnt lgkmcnt(0)
	v_add_f32_e64 v0, s12, s13
	v_cvt_i32_f32_e32 v0, v0
	v_cmp_ge_i32_e32 vcc_lo, s2, v0
	v_cvt_f32_i32_e32 v1, v0
	global_store_dwordx2 v2, v[1:2], s[10:11] offset:8
	s_cbranch_vccnz .LBB34_6
; %bb.3:
	v_mov_b32_e32 v1, s2
	s_mov_b32 s2, 0
.LBB34_4:                               ; =>This Inner Loop Header: Depth=1
	global_atomic_cmpswap v1, v2, v[0:1], s[14:15] offset:4 glc
	s_waitcnt vmcnt(0)
	v_cmp_ge_i32_e32 vcc_lo, v1, v0
	s_or_b32 s2, vcc_lo, s2
	s_andn2_b32 exec_lo, exec_lo, s2
	s_cbranch_execnz .LBB34_4
; %bb.5:
	s_or_b32 exec_lo, exec_lo, s2
.LBB34_6:
	v_cmp_gt_i32_e32 vcc_lo, 1, v0
	s_cbranch_vccnz .LBB34_14
; %bb.7:
	s_load_dwordx2 s[2:3], s[4:5], 0x0
	v_mov_b32_e32 v1, 0
	s_waitcnt lgkmcnt(0)
	s_mul_i32 s2, s6, s2
	s_lshl_b32 s4, s2, 1
	s_ashr_i32 s5, s4, 31
	s_lshl_b64 s[4:5], s[4:5], 2
	s_add_u32 s2, s8, s4
	s_addc_u32 s5, s9, s5
	s_add_u32 s4, s2, 12
	s_addc_u32 s5, s5, 0
	s_branch .LBB34_9
	.p2align	6
.LBB34_8:                               ;   in Loop: Header=BB34_9 Depth=1
	v_add_nc_u32_e32 v0, -1, v0
	s_add_u32 s4, s4, 16
	s_addc_u32 s5, s5, 0
	s_mov_b32 s2, 0
	v_cmp_eq_u32_e64 s6, 0, v0
	s_andn2_b32 vcc_lo, exec_lo, s6
	s_cbranch_vccz .LBB34_13
.LBB34_9:                               ; =>This Inner Loop Header: Depth=1
	global_load_dwordx2 v[2:3], v1, s[4:5] offset:-8
	s_mov_b32 s2, -1
	s_waitcnt vmcnt(0)
	v_cmp_ge_i32_e32 vcc_lo, v2, v3
	s_cbranch_vccnz .LBB34_11
; %bb.10:                               ;   in Loop: Header=BB34_9 Depth=1
	global_load_dword v2, v1, s[4:5]
	s_waitcnt vmcnt(0)
	v_cmp_le_i32_e64 s2, s3, v2
.LBB34_11:                              ;   in Loop: Header=BB34_9 Depth=1
	s_andn2_b32 vcc_lo, exec_lo, s2
	s_cbranch_vccz .LBB34_8
; %bb.12:
	s_mov_b32 s2, -1
                                        ; implicit-def: $vgpr0
                                        ; implicit-def: $sgpr4_sgpr5
.LBB34_13:
	s_xor_b32 s2, s2, -1
	s_and_b32 vcc_lo, exec_lo, s2
	s_cbranch_vccz .LBB34_1
	s_branch .LBB34_15
.LBB34_14:
	s_cbranch_execz .LBB34_1
.LBB34_15:
	s_mov_b32 s2, exec_lo
	v_mov_b32_e32 v0, 0
	v_mbcnt_lo_u32_b32 v1, s2, 0
	v_mov_b32_e32 v2, 1
	global_store_dword v0, v2, s[0:1] offset:8
	s_mov_b32 s0, exec_lo
	v_cmpx_eq_u32_e32 0, v1
	s_cbranch_execz .LBB34_1
; %bb.16:
	s_bcnt1_i32_b32 s0, s2
	v_mov_b32_e32 v1, s0
	global_atomic_add v0, v1, s[14:15]
	s_endpgm
	.section	.rodata,"a",@progbits
	.p2align	6, 0x0
	.amdhsa_kernel _ZN9rocsolver6v33100L19bdsqr_chk_completedI19rocblas_complex_numIfEfEEviiPiPT0_lS4_
		.amdhsa_group_segment_fixed_size 0
		.amdhsa_private_segment_fixed_size 0
		.amdhsa_kernarg_size 40
		.amdhsa_user_sgpr_count 6
		.amdhsa_user_sgpr_private_segment_buffer 1
		.amdhsa_user_sgpr_dispatch_ptr 0
		.amdhsa_user_sgpr_queue_ptr 0
		.amdhsa_user_sgpr_kernarg_segment_ptr 1
		.amdhsa_user_sgpr_dispatch_id 0
		.amdhsa_user_sgpr_flat_scratch_init 0
		.amdhsa_user_sgpr_private_segment_size 0
		.amdhsa_wavefront_size32 1
		.amdhsa_uses_dynamic_stack 0
		.amdhsa_system_sgpr_private_segment_wavefront_offset 0
		.amdhsa_system_sgpr_workgroup_id_x 1
		.amdhsa_system_sgpr_workgroup_id_y 1
		.amdhsa_system_sgpr_workgroup_id_z 0
		.amdhsa_system_sgpr_workgroup_info 0
		.amdhsa_system_vgpr_workitem_id 0
		.amdhsa_next_free_vgpr 4
		.amdhsa_next_free_sgpr 16
		.amdhsa_reserve_vcc 1
		.amdhsa_reserve_flat_scratch 0
		.amdhsa_float_round_mode_32 0
		.amdhsa_float_round_mode_16_64 0
		.amdhsa_float_denorm_mode_32 3
		.amdhsa_float_denorm_mode_16_64 3
		.amdhsa_dx10_clamp 1
		.amdhsa_ieee_mode 1
		.amdhsa_fp16_overflow 0
		.amdhsa_workgroup_processor_mode 1
		.amdhsa_memory_ordered 1
		.amdhsa_forward_progress 1
		.amdhsa_shared_vgpr_count 0
		.amdhsa_exception_fp_ieee_invalid_op 0
		.amdhsa_exception_fp_denorm_src 0
		.amdhsa_exception_fp_ieee_div_zero 0
		.amdhsa_exception_fp_ieee_overflow 0
		.amdhsa_exception_fp_ieee_underflow 0
		.amdhsa_exception_fp_ieee_inexact 0
		.amdhsa_exception_int_div_zero 0
	.end_amdhsa_kernel
	.section	.text._ZN9rocsolver6v33100L19bdsqr_chk_completedI19rocblas_complex_numIfEfEEviiPiPT0_lS4_,"axG",@progbits,_ZN9rocsolver6v33100L19bdsqr_chk_completedI19rocblas_complex_numIfEfEEviiPiPT0_lS4_,comdat
.Lfunc_end34:
	.size	_ZN9rocsolver6v33100L19bdsqr_chk_completedI19rocblas_complex_numIfEfEEviiPiPT0_lS4_, .Lfunc_end34-_ZN9rocsolver6v33100L19bdsqr_chk_completedI19rocblas_complex_numIfEfEEviiPiPT0_lS4_
                                        ; -- End function
	.set _ZN9rocsolver6v33100L19bdsqr_chk_completedI19rocblas_complex_numIfEfEEviiPiPT0_lS4_.num_vgpr, 4
	.set _ZN9rocsolver6v33100L19bdsqr_chk_completedI19rocblas_complex_numIfEfEEviiPiPT0_lS4_.num_agpr, 0
	.set _ZN9rocsolver6v33100L19bdsqr_chk_completedI19rocblas_complex_numIfEfEEviiPiPT0_lS4_.numbered_sgpr, 16
	.set _ZN9rocsolver6v33100L19bdsqr_chk_completedI19rocblas_complex_numIfEfEEviiPiPT0_lS4_.num_named_barrier, 0
	.set _ZN9rocsolver6v33100L19bdsqr_chk_completedI19rocblas_complex_numIfEfEEviiPiPT0_lS4_.private_seg_size, 0
	.set _ZN9rocsolver6v33100L19bdsqr_chk_completedI19rocblas_complex_numIfEfEEviiPiPT0_lS4_.uses_vcc, 1
	.set _ZN9rocsolver6v33100L19bdsqr_chk_completedI19rocblas_complex_numIfEfEEviiPiPT0_lS4_.uses_flat_scratch, 0
	.set _ZN9rocsolver6v33100L19bdsqr_chk_completedI19rocblas_complex_numIfEfEEviiPiPT0_lS4_.has_dyn_sized_stack, 0
	.set _ZN9rocsolver6v33100L19bdsqr_chk_completedI19rocblas_complex_numIfEfEEviiPiPT0_lS4_.has_recursion, 0
	.set _ZN9rocsolver6v33100L19bdsqr_chk_completedI19rocblas_complex_numIfEfEEviiPiPT0_lS4_.has_indirect_call, 0
	.section	.AMDGPU.csdata,"",@progbits
; Kernel info:
; codeLenInByte = 424
; TotalNumSgprs: 18
; NumVgprs: 4
; ScratchSize: 0
; MemoryBound: 0
; FloatMode: 240
; IeeeMode: 1
; LDSByteSize: 0 bytes/workgroup (compile time only)
; SGPRBlocks: 0
; VGPRBlocks: 0
; NumSGPRsForWavesPerEU: 18
; NumVGPRsForWavesPerEU: 4
; Occupancy: 16
; WaveLimiterHint : 0
; COMPUTE_PGM_RSRC2:SCRATCH_EN: 0
; COMPUTE_PGM_RSRC2:USER_SGPR: 6
; COMPUTE_PGM_RSRC2:TRAP_HANDLER: 0
; COMPUTE_PGM_RSRC2:TGID_X_EN: 1
; COMPUTE_PGM_RSRC2:TGID_Y_EN: 1
; COMPUTE_PGM_RSRC2:TGID_Z_EN: 0
; COMPUTE_PGM_RSRC2:TIDIG_COMP_CNT: 0
	.section	.text._ZN9rocsolver6v33100L14bdsqr_finalizeI19rocblas_complex_numIfEfPS3_S4_S4_EEviiiiPT0_lS6_lT1_iilT2_iilT3_iilPiSA_SA_,"axG",@progbits,_ZN9rocsolver6v33100L14bdsqr_finalizeI19rocblas_complex_numIfEfPS3_S4_S4_EEviiiiPT0_lS6_lT1_iilT2_iilT3_iilPiSA_SA_,comdat
	.globl	_ZN9rocsolver6v33100L14bdsqr_finalizeI19rocblas_complex_numIfEfPS3_S4_S4_EEviiiiPT0_lS6_lT1_iilT2_iilT3_iilPiSA_SA_ ; -- Begin function _ZN9rocsolver6v33100L14bdsqr_finalizeI19rocblas_complex_numIfEfPS3_S4_S4_EEviiiiPT0_lS6_lT1_iilT2_iilT3_iilPiSA_SA_
	.p2align	8
	.type	_ZN9rocsolver6v33100L14bdsqr_finalizeI19rocblas_complex_numIfEfPS3_S4_S4_EEviiiiPT0_lS6_lT1_iilT2_iilT3_iilPiSA_SA_,@function
_ZN9rocsolver6v33100L14bdsqr_finalizeI19rocblas_complex_numIfEfPS3_S4_S4_EEviiiiPT0_lS6_lT1_iilT2_iilT3_iilPiSA_SA_: ; @_ZN9rocsolver6v33100L14bdsqr_finalizeI19rocblas_complex_numIfEfPS3_S4_S4_EEviiiiPT0_lS6_lT1_iilT2_iilT3_iilPiSA_SA_
; %bb.0:
	s_add_u32 s6, s6, s10
	s_mov_b32 s32, 0
	s_addc_u32 s7, s7, 0
	s_setreg_b32 hwreg(HW_REG_FLAT_SCR_LO), s6
	s_setreg_b32 hwreg(HW_REG_FLAT_SCR_HI), s7
	s_load_dwordx8 s[36:43], s[4:5], 0x70
	s_add_u32 s0, s0, s10
	s_addc_u32 s1, s1, 0
	s_mov_b32 s12, s9
	s_ashr_i32 s13, s9, 31
	s_lshl_b64 s[26:27], s[12:13], 2
	s_waitcnt lgkmcnt(0)
	s_add_u32 s6, s42, s26
	s_addc_u32 s7, s43, s27
	s_load_dword s6, s[6:7], 0x8
	s_waitcnt lgkmcnt(0)
	s_cmp_gt_i32 s6, 1
	s_cbranch_scc1 .LBB35_310
; %bb.1:
	s_clause 0x2
	s_load_dwordx2 s[6:7], s[4:5], 0x9c
	s_load_dwordx8 s[44:51], s[4:5], 0x30
	s_load_dwordx8 s[52:59], s[4:5], 0x10
	s_mov_b64 s[28:29], 0
	s_mov_b64 s[34:35], 0
	s_waitcnt lgkmcnt(0)
	s_and_b32 s7, s7, 0xffff
	s_cmp_eq_u64 s[44:45], 0
	s_cbranch_scc1 .LBB35_3
; %bb.2:
	s_mul_i32 s8, s48, s13
	s_mul_hi_u32 s9, s48, s12
	s_mul_i32 s10, s49, s12
	s_add_i32 s8, s9, s8
	s_ashr_i32 s11, s46, 31
	s_add_i32 s9, s8, s10
	s_mul_i32 s8, s48, s12
	s_mov_b32 s10, s46
	s_lshl_b64 s[8:9], s[8:9], 3
	s_add_u32 s14, s44, s8
	s_addc_u32 s15, s45, s9
	s_lshl_b64 s[8:9], s[10:11], 3
	s_add_u32 s34, s14, s8
	s_addc_u32 s35, s15, s9
.LBB35_3:
	s_clause 0x1
	s_load_dwordx2 s[42:43], s[4:5], 0x50
	s_load_dwordx4 s[8:11], s[4:5], 0x58
	s_cmp_eq_u64 s[50:51], 0
	s_cbranch_scc1 .LBB35_5
; %bb.4:
	s_waitcnt lgkmcnt(0)
	s_mul_i32 s14, s8, s13
	s_mul_hi_u32 s15, s8, s12
	s_mul_i32 s9, s9, s12
	s_add_i32 s14, s15, s14
	s_mul_i32 s8, s8, s12
	s_add_i32 s9, s14, s9
	s_ashr_i32 s15, s42, 31
	s_lshl_b64 s[8:9], s[8:9], 3
	s_mov_b32 s14, s42
	s_add_u32 s16, s50, s8
	s_addc_u32 s17, s51, s9
	s_lshl_b64 s[8:9], s[14:15], 3
	s_add_u32 s28, s16, s8
	s_addc_u32 s29, s17, s9
.LBB35_5:
	s_load_dwordx2 s[60:61], s[4:5], 0x68
	s_waitcnt lgkmcnt(0)
	s_cmp_eq_u64 s[10:11], 0
	s_mov_b64 s[44:45], 0
	s_cbranch_scc1 .LBB35_7
; %bb.6:
	s_mul_i32 s8, s36, s13
	s_mul_hi_u32 s9, s36, s12
	s_mul_i32 s14, s37, s12
	s_add_i32 s8, s9, s8
	s_ashr_i32 s15, s60, 31
	s_add_i32 s9, s8, s14
	s_mul_i32 s8, s36, s12
	s_mov_b32 s14, s60
	s_lshl_b64 s[8:9], s[8:9], 3
	s_add_u32 s10, s10, s8
	s_addc_u32 s11, s11, s9
	s_lshl_b64 s[8:9], s[14:15], 3
	s_add_u32 s44, s10, s8
	s_addc_u32 s45, s11, s9
.LBB35_7:
	s_mul_i32 s8, s54, s13
	s_mul_hi_u32 s9, s54, s12
	s_mul_i32 s10, s55, s12
	s_add_i32 s9, s9, s8
	s_mul_i32 s8, s54, s12
	s_add_i32 s9, s9, s10
	s_load_dwordx4 s[48:51], s[4:5], 0x0
	s_lshl_b64 s[54:55], s[8:9], 2
	s_add_u32 s36, s52, s54
	s_addc_u32 s37, s53, s55
	s_lshr_b32 s8, s6, 16
	s_and_b32 s25, s6, 0xffff
	s_and_b32 s7, s7, 0xffff
	s_mul_i32 s46, s8, s25
	v_mul_u32_u24_e32 v4, s25, v1
	v_mul_lo_u32 v3, s46, v2
	s_mul_i32 s46, s46, s7
	v_add3_u32 v40, v4, v0, v3
	s_waitcnt lgkmcnt(0)
	s_cmp_lt_i32 s48, 1
	v_cmp_eq_u32_e64 s6, 0, v40
	s_cbranch_scc1 .LBB35_22
; %bb.8:
	s_mul_i32 s7, s58, s13
	s_mul_hi_u32 s8, s58, s12
	s_mul_i32 s9, s59, s12
	s_add_i32 s7, s8, s7
	s_mul_i32 s8, s58, s12
	s_add_i32 s9, s7, s9
	v_cmp_gt_u32_e64 s7, s49, v40
	s_lshl_b64 s[8:9], s[8:9], 2
	v_mov_b32_e32 v3, 0
	s_add_u32 s13, s56, s8
	s_addc_u32 s14, s57, s9
	s_add_i32 s15, s48, -1
	s_cmp_lg_u32 s49, 0
	s_mov_b32 s9, 0
	s_cselect_b32 s16, -1, 0
	s_ashr_i32 s17, s47, 31
	s_mov_b32 s18, s47
	s_mov_b32 s8, s9
	;; [unrolled: 1-line block ×3, first 2 shown]
	s_branch .LBB35_11
.LBB35_9:                               ;   in Loop: Header=BB35_11 Depth=1
	s_or_b32 exec_lo, exec_lo, s19
.LBB35_10:                              ;   in Loop: Header=BB35_11 Depth=1
	s_add_i32 s8, s8, 1
	s_cmp_eq_u32 s8, s48
	s_cbranch_scc1 .LBB35_23
.LBB35_11:                              ; =>This Loop Header: Depth=1
                                        ;     Child Loop BB35_18 Depth 2
	s_cmp_ge_i32 s8, s15
	s_cbranch_scc1 .LBB35_14
; %bb.12:                               ;   in Loop: Header=BB35_11 Depth=1
	s_lshl_b64 s[10:11], s[8:9], 2
	s_add_u32 s10, s13, s10
	s_addc_u32 s11, s14, s11
	global_load_dword v4, v3, s[10:11]
	s_waitcnt vmcnt(0)
	v_cmp_eq_f32_e32 vcc_lo, 0, v4
	s_cbranch_vccnz .LBB35_14
; %bb.13:                               ;   in Loop: Header=BB35_11 Depth=1
	s_add_i32 s42, s42, 1
.LBB35_14:                              ;   in Loop: Header=BB35_11 Depth=1
	s_lshl_b64 s[10:11], s[8:9], 2
	s_add_u32 s10, s36, s10
	s_addc_u32 s11, s37, s11
	global_load_dword v4, v3, s[10:11]
	s_waitcnt vmcnt(0)
	v_cmp_ngt_f32_e32 vcc_lo, 0, v4
	s_cbranch_vccnz .LBB35_10
; %bb.15:                               ;   in Loop: Header=BB35_11 Depth=1
	s_andn2_b32 vcc_lo, exec_lo, s16
	s_cbranch_vccnz .LBB35_20
; %bb.16:                               ;   in Loop: Header=BB35_11 Depth=1
	s_and_saveexec_b32 s19, s7
	s_cbranch_execz .LBB35_19
; %bb.17:                               ;   in Loop: Header=BB35_11 Depth=1
	s_lshl_b64 s[20:21], s[8:9], 3
	v_mov_b32_e32 v4, v40
	s_add_u32 s20, s34, s20
	s_addc_u32 s21, s35, s21
	s_mov_b32 s22, 0
	.p2align	6
.LBB35_18:                              ;   Parent Loop BB35_11 Depth=1
                                        ; =>  This Inner Loop Header: Depth=2
	v_mad_u64_u32 v[5:6], null, v4, s18, 0
	v_mad_u64_u32 v[6:7], null, v4, s17, v[6:7]
	v_add_nc_u32_e32 v4, s46, v4
	v_lshlrev_b64 v[5:6], 3, v[5:6]
	v_add_co_u32 v5, vcc_lo, s20, v5
	v_add_co_ci_u32_e64 v6, null, s21, v6, vcc_lo
	v_cmp_le_u32_e32 vcc_lo, s49, v4
	global_load_dwordx2 v[7:8], v[5:6], off
	s_or_b32 s22, vcc_lo, s22
	s_waitcnt vmcnt(0)
	v_xor_b32_e32 v7, 0x80000000, v7
	v_xor_b32_e32 v8, 0x80000000, v8
	global_store_dwordx2 v[5:6], v[7:8], off
	s_andn2_b32 exec_lo, exec_lo, s22
	s_cbranch_execnz .LBB35_18
.LBB35_19:                              ;   in Loop: Header=BB35_11 Depth=1
	s_or_b32 exec_lo, exec_lo, s19
	s_waitcnt_vscnt null, 0x0
	s_barrier
	buffer_gl0_inv
.LBB35_20:                              ;   in Loop: Header=BB35_11 Depth=1
	s_and_saveexec_b32 s19, s6
	s_cbranch_execz .LBB35_9
; %bb.21:                               ;   in Loop: Header=BB35_11 Depth=1
	global_load_dword v4, v3, s[10:11]
	s_waitcnt vmcnt(0)
	v_xor_b32_e32 v4, 0x80000000, v4
	global_store_dword v3, v4, s[10:11]
	s_branch .LBB35_9
.LBB35_22:
	s_mov_b32 s42, 0
.LBB35_23:
	s_cmp_lt_i32 s42, 1
	s_mov_b32 s6, -1
	s_cbranch_scc0 .LBB35_307
; %bb.24:
	s_mul_i32 s6, s12, s48
	s_mov_b32 s56, 0
	s_lshl_b32 s6, s6, 1
	s_waitcnt_vscnt null, 0x0
	s_ashr_i32 s7, s6, 31
	s_barrier
	s_lshl_b64 s[6:7], s[6:7], 2
	buffer_gl0_inv
	s_add_u32 s6, s40, s6
	s_addc_u32 s7, s41, s7
	s_cmp_lg_u64 s[40:41], 0
	s_cselect_b32 s41, s7, 0
	s_cselect_b32 s40, s6, 0
	s_cmp_lg_u64 s[40:41], 0
	s_cbranch_scc0 .LBB35_43
; %bb.25:
	s_or_b32 s6, s50, s49
	s_or_b32 s6, s6, s51
	s_cmp_gt_i32 s48, 0
	s_cselect_b32 s60, -1, 0
	s_cmp_lg_u64 s[52:53], 0
	s_cselect_b32 s7, -1, 0
	s_and_b32 s58, s60, s7
	s_cmp_eq_u32 s6, 0
	s_cbranch_scc1 .LBB35_44
; %bb.26:
	s_mov_b32 s62, -1
	s_mov_b32 s59, 0
	s_and_b32 vcc_lo, exec_lo, s58
	s_cbranch_vccz .LBB35_142
; %bb.27:
	s_mov_b32 s6, exec_lo
	s_barrier
	buffer_gl0_inv
	v_cmpx_gt_u32_e64 s48, v40
	s_cbranch_execz .LBB35_30
; %bb.28:
	v_mov_b32_e32 v4, 0
	v_mov_b32_e32 v3, v40
	s_mov_b32 s7, 0
.LBB35_29:                              ; =>This Inner Loop Header: Depth=1
	v_lshlrev_b64 v[5:6], 2, v[3:4]
	v_add_co_u32 v5, vcc_lo, s40, v5
	v_add_co_ci_u32_e64 v6, null, s41, v6, vcc_lo
	global_store_dword v[5:6], v3, off
	v_add_nc_u32_e32 v3, s46, v3
	v_cmp_le_u32_e32 vcc_lo, s48, v3
	s_or_b32 s7, vcc_lo, s7
	s_andn2_b32 exec_lo, exec_lo, s7
	s_cbranch_execnz .LBB35_29
.LBB35_30:
	s_or_b32 exec_lo, exec_lo, s6
	v_or3_b32 v3, v1, v2, v0
	s_mov_b32 s18, exec_lo
	s_waitcnt_vscnt null, 0x0
	s_barrier
	buffer_gl0_inv
	v_cmpx_eq_u32_e32 0, v3
	s_cbranch_execz .LBB35_126
; %bb.31:
	s_cmpk_lt_u32 s48, 0x2be
	s_cbranch_scc1 .LBB35_45
; %bb.32:
	v_mov_b32_e32 v3, 0
	v_mov_b32_e32 v4, 0x800
	s_movk_i32 s6, 0x2bd
	s_movk_i32 s14, 0x57a
	s_mov_b64 s[8:9], 0
	s_mov_b32 s7, 0
	s_branch .LBB35_34
.LBB35_33:                              ;   in Loop: Header=BB35_34 Depth=1
	s_ashr_i32 s11, s10, 31
	s_lshl_b64 s[10:11], s[10:11], 2
	s_add_u32 s12, s36, s10
	s_addc_u32 s13, s37, s11
	s_add_u32 s10, s40, s10
	s_addc_u32 s11, s41, s11
	s_add_i32 s6, s6, 1
	s_add_i32 s14, s14, 1
	s_add_u32 s8, s8, 4
	s_addc_u32 s9, s9, 0
	s_cmp_eq_u32 s6, s48
	global_store_dword v3, v5, s[12:13]
	global_store_dword v3, v6, s[10:11]
	s_cbranch_scc1 .LBB35_45
.LBB35_34:                              ; =>This Loop Header: Depth=1
                                        ;     Child Loop BB35_35 Depth 2
	s_lshl_b64 s[10:11], s[6:7], 2
	s_mov_b32 s15, s14
	s_add_u32 s12, s36, s10
	s_addc_u32 s13, s37, s11
	s_add_u32 s10, s40, s10
	s_addc_u32 s11, s41, s11
	s_clause 0x1
	global_load_dword v5, v3, s[12:13]
	global_load_dword v6, v3, s[10:11]
	s_mov_b64 s[10:11], s[8:9]
	.p2align	6
.LBB35_35:                              ;   Parent Loop BB35_34 Depth=1
                                        ; =>  This Inner Loop Header: Depth=2
	s_add_u32 s12, s36, s10
	s_addc_u32 s13, s37, s11
	s_mov_b32 s17, -1
	global_load_dword v7, v3, s[12:13]
	s_mov_b32 s19, -1
                                        ; implicit-def: $sgpr16
	s_waitcnt vmcnt(0)
	v_cmp_nlt_f32_e32 vcc_lo, v7, v5
	s_cbranch_vccnz .LBB35_37
; %bb.36:                               ;   in Loop: Header=BB35_35 Depth=2
	s_add_u32 s20, s40, s10
	s_addc_u32 s21, s41, s11
	s_add_i32 s16, s15, 0xfffffd43
	global_load_dword v8, v3, s[20:21]
	s_add_u32 s10, s10, 0xfffff50c
	s_addc_u32 s11, s11, -1
	s_cmpk_lt_i32 s16, 0x57a
	s_mov_b32 s17, 0
	s_cselect_b32 s19, -1, 0
	global_store_dword v4, v7, s[12:13] offset:756
	s_waitcnt vmcnt(0)
	global_store_dword v4, v8, s[20:21] offset:756
.LBB35_37:                              ;   in Loop: Header=BB35_35 Depth=2
	s_andn2_b32 vcc_lo, exec_lo, s19
	s_cbranch_vccz .LBB35_39
; %bb.38:                               ;   in Loop: Header=BB35_35 Depth=2
	s_mov_b32 s15, s16
	s_branch .LBB35_35
.LBB35_39:                              ;   in Loop: Header=BB35_34 Depth=1
	s_andn2_b32 vcc_lo, exec_lo, s17
	s_mov_b32 s11, -1
                                        ; implicit-def: $sgpr10
	s_cbranch_vccz .LBB35_41
; %bb.40:                               ;   in Loop: Header=BB35_34 Depth=1
	s_add_i32 s10, s16, 0xfffffd43
	s_mov_b32 s11, 0
.LBB35_41:                              ;   in Loop: Header=BB35_34 Depth=1
	s_andn2_b32 vcc_lo, exec_lo, s11
	s_cbranch_vccnz .LBB35_33
; %bb.42:                               ;   in Loop: Header=BB35_34 Depth=1
	s_add_i32 s10, s15, 0xfffffd43
	s_branch .LBB35_33
.LBB35_43:
	s_branch .LBB35_283
.LBB35_44:
	s_mov_b32 s59, 0
	s_cbranch_execnz .LBB35_167
	s_branch .LBB35_278
.LBB35_45:
	s_cmpk_lt_i32 s48, 0x12e
	s_cbranch_scc1 .LBB35_57
; %bb.46:
	v_mov_b32_e32 v3, 0
	s_add_u32 s6, s40, 0x4b4
	s_addc_u32 s7, s41, 0
	s_movk_i32 s8, 0x12d
	s_movk_i32 s16, 0x25a
	s_mov_b32 s9, 0
	s_mov_b64 s[10:11], s[36:37]
	s_branch .LBB35_48
.LBB35_47:                              ;   in Loop: Header=BB35_48 Depth=1
	s_ashr_i32 s13, s12, 31
	s_lshl_b64 s[12:13], s[12:13], 2
	s_add_u32 s14, s36, s12
	s_addc_u32 s15, s37, s13
	s_add_u32 s12, s40, s12
	s_addc_u32 s13, s41, s13
	s_add_i32 s8, s8, 1
	s_add_i32 s16, s16, 1
	s_add_u32 s6, s6, 4
	s_addc_u32 s7, s7, 0
	s_add_u32 s10, s10, 4
	s_addc_u32 s11, s11, 0
	s_cmp_lg_u32 s8, s48
	global_store_dword v3, v4, s[14:15]
	global_store_dword v3, v5, s[12:13]
	s_cbranch_scc0 .LBB35_57
.LBB35_48:                              ; =>This Loop Header: Depth=1
                                        ;     Child Loop BB35_49 Depth 2
	s_lshl_b64 s[12:13], s[8:9], 2
	s_mov_b32 s17, s16
	s_add_u32 s14, s36, s12
	s_addc_u32 s15, s37, s13
	s_add_u32 s12, s40, s12
	s_addc_u32 s13, s41, s13
	s_clause 0x1
	global_load_dword v4, v3, s[14:15]
	global_load_dword v5, v3, s[12:13]
	s_mov_b64 s[12:13], s[10:11]
	s_mov_b64 s[14:15], s[6:7]
	.p2align	6
.LBB35_49:                              ;   Parent Loop BB35_48 Depth=1
                                        ; =>  This Inner Loop Header: Depth=2
	global_load_dword v6, v3, s[12:13]
	s_mov_b32 s20, -1
	s_mov_b32 s21, -1
                                        ; implicit-def: $sgpr19
	s_waitcnt vmcnt(0)
	v_cmp_nlt_f32_e32 vcc_lo, v6, v4
	s_cbranch_vccnz .LBB35_51
; %bb.50:                               ;   in Loop: Header=BB35_49 Depth=2
	global_load_dword v7, v3, s[14:15] offset:-1204
	s_add_u32 s22, s14, 0xfffffb4c
	s_addc_u32 s23, s15, -1
	s_add_i32 s19, s17, 0xfffffed3
	global_store_dword v3, v6, s[12:13] offset:1204
	s_add_u32 s12, s12, 0xfffffb4c
	s_addc_u32 s13, s13, -1
	s_cmpk_lt_i32 s19, 0x25a
	s_mov_b32 s20, 0
	s_cselect_b32 s21, -1, 0
	s_waitcnt vmcnt(0)
	global_store_dword v3, v7, s[14:15]
	s_mov_b64 s[14:15], s[22:23]
.LBB35_51:                              ;   in Loop: Header=BB35_49 Depth=2
	s_andn2_b32 vcc_lo, exec_lo, s21
	s_cbranch_vccz .LBB35_53
; %bb.52:                               ;   in Loop: Header=BB35_49 Depth=2
	s_mov_b32 s17, s19
	s_branch .LBB35_49
.LBB35_53:                              ;   in Loop: Header=BB35_48 Depth=1
	s_andn2_b32 vcc_lo, exec_lo, s20
	s_mov_b32 s13, -1
                                        ; implicit-def: $sgpr12
	s_cbranch_vccz .LBB35_55
; %bb.54:                               ;   in Loop: Header=BB35_48 Depth=1
	s_add_i32 s12, s19, 0xfffffed3
	s_mov_b32 s13, 0
.LBB35_55:                              ;   in Loop: Header=BB35_48 Depth=1
	s_andn2_b32 vcc_lo, exec_lo, s13
	s_cbranch_vccnz .LBB35_47
; %bb.56:                               ;   in Loop: Header=BB35_48 Depth=1
	s_add_i32 s12, s17, 0xfffffed3
	s_branch .LBB35_47
.LBB35_57:
	s_cmpk_lt_i32 s48, 0x85
	s_cbranch_scc1 .LBB35_69
; %bb.58:
	v_mov_b32_e32 v3, 0
	s_add_u32 s6, s40, 0x210
	s_addc_u32 s7, s41, 0
	s_movk_i32 s8, 0x84
	s_movk_i32 s16, 0x108
	s_mov_b32 s9, 0
	s_mov_b64 s[10:11], s[36:37]
	s_branch .LBB35_60
.LBB35_59:                              ;   in Loop: Header=BB35_60 Depth=1
	s_ashr_i32 s13, s12, 31
	s_lshl_b64 s[12:13], s[12:13], 2
	s_add_u32 s14, s36, s12
	s_addc_u32 s15, s37, s13
	s_add_u32 s12, s40, s12
	s_addc_u32 s13, s41, s13
	s_add_i32 s8, s8, 1
	s_add_i32 s16, s16, 1
	s_add_u32 s6, s6, 4
	s_addc_u32 s7, s7, 0
	s_add_u32 s10, s10, 4
	s_addc_u32 s11, s11, 0
	s_cmp_lg_u32 s8, s48
	global_store_dword v3, v4, s[14:15]
	global_store_dword v3, v5, s[12:13]
	s_cbranch_scc0 .LBB35_69
.LBB35_60:                              ; =>This Loop Header: Depth=1
                                        ;     Child Loop BB35_61 Depth 2
	s_lshl_b64 s[12:13], s[8:9], 2
	s_mov_b32 s17, s16
	s_add_u32 s14, s36, s12
	s_addc_u32 s15, s37, s13
	s_add_u32 s12, s40, s12
	s_addc_u32 s13, s41, s13
	s_clause 0x1
	global_load_dword v4, v3, s[14:15]
	global_load_dword v5, v3, s[12:13]
	s_mov_b64 s[12:13], s[10:11]
	s_mov_b64 s[14:15], s[6:7]
	.p2align	6
.LBB35_61:                              ;   Parent Loop BB35_60 Depth=1
                                        ; =>  This Inner Loop Header: Depth=2
	global_load_dword v6, v3, s[12:13]
	s_mov_b32 s20, -1
	s_mov_b32 s21, -1
                                        ; implicit-def: $sgpr19
	s_waitcnt vmcnt(0)
	v_cmp_nlt_f32_e32 vcc_lo, v6, v4
	s_cbranch_vccnz .LBB35_63
; %bb.62:                               ;   in Loop: Header=BB35_61 Depth=2
	global_load_dword v7, v3, s[14:15] offset:-528
	s_add_u32 s22, s14, 0xfffffdf0
	s_addc_u32 s23, s15, -1
	s_add_i32 s19, s17, 0xffffff7c
	global_store_dword v3, v6, s[12:13] offset:528
	s_add_u32 s12, s12, 0xfffffdf0
	s_addc_u32 s13, s13, -1
	s_cmpk_lt_i32 s19, 0x108
	s_mov_b32 s20, 0
	s_cselect_b32 s21, -1, 0
	s_waitcnt vmcnt(0)
	global_store_dword v3, v7, s[14:15]
	s_mov_b64 s[14:15], s[22:23]
.LBB35_63:                              ;   in Loop: Header=BB35_61 Depth=2
	s_andn2_b32 vcc_lo, exec_lo, s21
	s_cbranch_vccz .LBB35_65
; %bb.64:                               ;   in Loop: Header=BB35_61 Depth=2
	s_mov_b32 s17, s19
	s_branch .LBB35_61
.LBB35_65:                              ;   in Loop: Header=BB35_60 Depth=1
	s_andn2_b32 vcc_lo, exec_lo, s20
	s_mov_b32 s13, -1
                                        ; implicit-def: $sgpr12
	s_cbranch_vccz .LBB35_67
; %bb.66:                               ;   in Loop: Header=BB35_60 Depth=1
	s_add_i32 s12, s19, 0xffffff7c
	s_mov_b32 s13, 0
.LBB35_67:                              ;   in Loop: Header=BB35_60 Depth=1
	s_andn2_b32 vcc_lo, exec_lo, s13
	s_cbranch_vccnz .LBB35_59
; %bb.68:                               ;   in Loop: Header=BB35_60 Depth=1
	s_add_i32 s12, s17, 0xffffff7c
	s_branch .LBB35_59
.LBB35_69:
	s_cmp_lt_i32 s48, 58
	s_cbranch_scc1 .LBB35_81
; %bb.70:
	v_mov_b32_e32 v3, 0
	s_add_u32 s6, s40, 0xe4
	s_addc_u32 s7, s41, 0
	s_mov_b32 s8, 57
	s_movk_i32 s16, 0x72
	s_mov_b32 s9, 0
	s_mov_b64 s[10:11], s[36:37]
	s_branch .LBB35_72
.LBB35_71:                              ;   in Loop: Header=BB35_72 Depth=1
	s_ashr_i32 s13, s12, 31
	s_lshl_b64 s[12:13], s[12:13], 2
	s_add_u32 s14, s36, s12
	s_addc_u32 s15, s37, s13
	s_add_u32 s12, s40, s12
	s_addc_u32 s13, s41, s13
	s_add_i32 s8, s8, 1
	s_add_i32 s16, s16, 1
	s_add_u32 s6, s6, 4
	s_addc_u32 s7, s7, 0
	s_add_u32 s10, s10, 4
	s_addc_u32 s11, s11, 0
	s_cmp_lg_u32 s8, s48
	global_store_dword v3, v4, s[14:15]
	global_store_dword v3, v5, s[12:13]
	s_cbranch_scc0 .LBB35_81
.LBB35_72:                              ; =>This Loop Header: Depth=1
                                        ;     Child Loop BB35_73 Depth 2
	s_lshl_b64 s[12:13], s[8:9], 2
	s_mov_b32 s17, s16
	s_add_u32 s14, s36, s12
	s_addc_u32 s15, s37, s13
	s_add_u32 s12, s40, s12
	s_addc_u32 s13, s41, s13
	s_clause 0x1
	global_load_dword v4, v3, s[14:15]
	global_load_dword v5, v3, s[12:13]
	s_mov_b64 s[12:13], s[10:11]
	s_mov_b64 s[14:15], s[6:7]
	.p2align	6
.LBB35_73:                              ;   Parent Loop BB35_72 Depth=1
                                        ; =>  This Inner Loop Header: Depth=2
	global_load_dword v6, v3, s[12:13]
	s_mov_b32 s20, -1
	s_mov_b32 s21, -1
                                        ; implicit-def: $sgpr19
	s_waitcnt vmcnt(0)
	v_cmp_nlt_f32_e32 vcc_lo, v6, v4
	s_cbranch_vccnz .LBB35_75
; %bb.74:                               ;   in Loop: Header=BB35_73 Depth=2
	global_load_dword v7, v3, s[14:15] offset:-228
	s_add_u32 s22, s14, 0xffffff1c
	s_addc_u32 s23, s15, -1
	s_sub_i32 s19, s17, 57
	global_store_dword v3, v6, s[12:13] offset:228
	s_add_u32 s12, s12, 0xffffff1c
	s_addc_u32 s13, s13, -1
	s_cmpk_lt_i32 s19, 0x72
	s_mov_b32 s20, 0
	s_cselect_b32 s21, -1, 0
	s_waitcnt vmcnt(0)
	global_store_dword v3, v7, s[14:15]
	s_mov_b64 s[14:15], s[22:23]
.LBB35_75:                              ;   in Loop: Header=BB35_73 Depth=2
	s_andn2_b32 vcc_lo, exec_lo, s21
	s_cbranch_vccz .LBB35_77
; %bb.76:                               ;   in Loop: Header=BB35_73 Depth=2
	s_mov_b32 s17, s19
	s_branch .LBB35_73
.LBB35_77:                              ;   in Loop: Header=BB35_72 Depth=1
	s_andn2_b32 vcc_lo, exec_lo, s20
	s_mov_b32 s13, -1
                                        ; implicit-def: $sgpr12
	s_cbranch_vccz .LBB35_79
; %bb.78:                               ;   in Loop: Header=BB35_72 Depth=1
	s_sub_i32 s12, s19, 57
	s_mov_b32 s13, 0
.LBB35_79:                              ;   in Loop: Header=BB35_72 Depth=1
	s_andn2_b32 vcc_lo, exec_lo, s13
	s_cbranch_vccnz .LBB35_71
; %bb.80:                               ;   in Loop: Header=BB35_72 Depth=1
	s_sub_i32 s12, s17, 57
	s_branch .LBB35_71
.LBB35_81:
	s_cmp_lt_i32 s48, 24
	s_cbranch_scc1 .LBB35_93
; %bb.82:
	v_mov_b32_e32 v3, 0
	s_add_u32 s6, s40, 0x5c
	s_addc_u32 s7, s41, 0
	s_mov_b32 s8, 23
	s_mov_b32 s16, 46
	s_mov_b32 s9, 0
	s_mov_b64 s[10:11], s[36:37]
	s_branch .LBB35_84
.LBB35_83:                              ;   in Loop: Header=BB35_84 Depth=1
	s_ashr_i32 s13, s12, 31
	s_lshl_b64 s[12:13], s[12:13], 2
	s_add_u32 s14, s36, s12
	s_addc_u32 s15, s37, s13
	s_add_u32 s12, s40, s12
	s_addc_u32 s13, s41, s13
	s_add_i32 s8, s8, 1
	s_add_i32 s16, s16, 1
	s_add_u32 s6, s6, 4
	s_addc_u32 s7, s7, 0
	s_add_u32 s10, s10, 4
	s_addc_u32 s11, s11, 0
	s_cmp_lg_u32 s8, s48
	global_store_dword v3, v4, s[14:15]
	global_store_dword v3, v5, s[12:13]
	s_cbranch_scc0 .LBB35_93
.LBB35_84:                              ; =>This Loop Header: Depth=1
                                        ;     Child Loop BB35_85 Depth 2
	s_lshl_b64 s[12:13], s[8:9], 2
	s_mov_b32 s17, s16
	s_add_u32 s14, s36, s12
	s_addc_u32 s15, s37, s13
	s_add_u32 s12, s40, s12
	s_addc_u32 s13, s41, s13
	s_clause 0x1
	global_load_dword v4, v3, s[14:15]
	global_load_dword v5, v3, s[12:13]
	s_mov_b64 s[12:13], s[10:11]
	s_mov_b64 s[14:15], s[6:7]
	.p2align	6
.LBB35_85:                              ;   Parent Loop BB35_84 Depth=1
                                        ; =>  This Inner Loop Header: Depth=2
	global_load_dword v6, v3, s[12:13]
	s_mov_b32 s20, -1
	s_mov_b32 s21, -1
                                        ; implicit-def: $sgpr19
	s_waitcnt vmcnt(0)
	v_cmp_nlt_f32_e32 vcc_lo, v6, v4
	s_cbranch_vccnz .LBB35_87
; %bb.86:                               ;   in Loop: Header=BB35_85 Depth=2
	global_load_dword v7, v3, s[14:15] offset:-92
	s_add_u32 s22, s14, 0xffffffa4
	s_addc_u32 s23, s15, -1
	s_sub_i32 s19, s17, 23
	global_store_dword v3, v6, s[12:13] offset:92
	s_add_u32 s12, s12, 0xffffffa4
	s_addc_u32 s13, s13, -1
	s_cmp_lt_i32 s19, 46
	s_mov_b32 s20, 0
	s_cselect_b32 s21, -1, 0
	s_waitcnt vmcnt(0)
	global_store_dword v3, v7, s[14:15]
	s_mov_b64 s[14:15], s[22:23]
.LBB35_87:                              ;   in Loop: Header=BB35_85 Depth=2
	s_andn2_b32 vcc_lo, exec_lo, s21
	s_cbranch_vccz .LBB35_89
; %bb.88:                               ;   in Loop: Header=BB35_85 Depth=2
	s_mov_b32 s17, s19
	s_branch .LBB35_85
.LBB35_89:                              ;   in Loop: Header=BB35_84 Depth=1
	s_andn2_b32 vcc_lo, exec_lo, s20
	s_mov_b32 s13, -1
                                        ; implicit-def: $sgpr12
	s_cbranch_vccz .LBB35_91
; %bb.90:                               ;   in Loop: Header=BB35_84 Depth=1
	s_sub_i32 s12, s19, 23
	s_mov_b32 s13, 0
.LBB35_91:                              ;   in Loop: Header=BB35_84 Depth=1
	s_andn2_b32 vcc_lo, exec_lo, s13
	s_cbranch_vccnz .LBB35_83
; %bb.92:                               ;   in Loop: Header=BB35_84 Depth=1
	s_sub_i32 s12, s17, 23
	s_branch .LBB35_83
.LBB35_93:
	s_cmp_lt_i32 s48, 11
	s_cbranch_scc1 .LBB35_105
; %bb.94:
	v_mov_b32_e32 v3, 0
	s_add_u32 s6, s40, 40
	s_addc_u32 s7, s41, 0
	s_mov_b32 s8, 10
	s_mov_b32 s16, 20
	s_mov_b32 s9, 0
	s_mov_b64 s[10:11], s[36:37]
	s_branch .LBB35_96
.LBB35_95:                              ;   in Loop: Header=BB35_96 Depth=1
	s_ashr_i32 s13, s12, 31
	s_lshl_b64 s[12:13], s[12:13], 2
	s_add_u32 s14, s36, s12
	s_addc_u32 s15, s37, s13
	s_add_u32 s12, s40, s12
	s_addc_u32 s13, s41, s13
	s_add_i32 s8, s8, 1
	s_add_i32 s16, s16, 1
	s_add_u32 s6, s6, 4
	s_addc_u32 s7, s7, 0
	s_add_u32 s10, s10, 4
	s_addc_u32 s11, s11, 0
	s_cmp_lg_u32 s8, s48
	global_store_dword v3, v4, s[14:15]
	global_store_dword v3, v5, s[12:13]
	s_cbranch_scc0 .LBB35_105
.LBB35_96:                              ; =>This Loop Header: Depth=1
                                        ;     Child Loop BB35_97 Depth 2
	s_lshl_b64 s[12:13], s[8:9], 2
	s_mov_b32 s17, s16
	s_add_u32 s14, s36, s12
	s_addc_u32 s15, s37, s13
	s_add_u32 s12, s40, s12
	s_addc_u32 s13, s41, s13
	s_clause 0x1
	global_load_dword v4, v3, s[14:15]
	global_load_dword v5, v3, s[12:13]
	s_mov_b64 s[12:13], s[10:11]
	s_mov_b64 s[14:15], s[6:7]
	.p2align	6
.LBB35_97:                              ;   Parent Loop BB35_96 Depth=1
                                        ; =>  This Inner Loop Header: Depth=2
	global_load_dword v6, v3, s[12:13]
	s_mov_b32 s20, -1
	s_mov_b32 s21, -1
                                        ; implicit-def: $sgpr19
	s_waitcnt vmcnt(0)
	v_cmp_nlt_f32_e32 vcc_lo, v6, v4
	s_cbranch_vccnz .LBB35_99
; %bb.98:                               ;   in Loop: Header=BB35_97 Depth=2
	global_load_dword v7, v3, s[14:15] offset:-40
	s_add_u32 s22, s14, 0xffffffd8
	s_addc_u32 s23, s15, -1
	s_add_i32 s19, s17, -10
	global_store_dword v3, v6, s[12:13] offset:40
	s_add_u32 s12, s12, 0xffffffd8
	s_addc_u32 s13, s13, -1
	s_cmp_lt_i32 s19, 20
	s_mov_b32 s20, 0
	s_cselect_b32 s21, -1, 0
	s_waitcnt vmcnt(0)
	global_store_dword v3, v7, s[14:15]
	s_mov_b64 s[14:15], s[22:23]
.LBB35_99:                              ;   in Loop: Header=BB35_97 Depth=2
	s_andn2_b32 vcc_lo, exec_lo, s21
	s_cbranch_vccz .LBB35_101
; %bb.100:                              ;   in Loop: Header=BB35_97 Depth=2
	s_mov_b32 s17, s19
	s_branch .LBB35_97
.LBB35_101:                             ;   in Loop: Header=BB35_96 Depth=1
	s_andn2_b32 vcc_lo, exec_lo, s20
	s_mov_b32 s13, -1
                                        ; implicit-def: $sgpr12
	s_cbranch_vccz .LBB35_103
; %bb.102:                              ;   in Loop: Header=BB35_96 Depth=1
	s_add_i32 s12, s19, -10
	s_mov_b32 s13, 0
.LBB35_103:                             ;   in Loop: Header=BB35_96 Depth=1
	s_andn2_b32 vcc_lo, exec_lo, s13
	s_cbranch_vccnz .LBB35_95
; %bb.104:                              ;   in Loop: Header=BB35_96 Depth=1
	s_add_i32 s12, s17, -10
	s_branch .LBB35_95
.LBB35_105:
	s_cmp_lt_i32 s48, 5
	s_cbranch_scc1 .LBB35_117
; %bb.106:
	s_add_u32 s6, s40, 16
	s_addc_u32 s7, s41, 0
	s_add_u32 s8, s52, s54
	v_mov_b32_e32 v3, 0
	s_addc_u32 s9, s53, s55
	s_add_u32 s8, s8, 16
	s_addc_u32 s9, s9, 0
	s_mov_b32 s10, 4
	s_mov_b32 s19, 8
	;; [unrolled: 1-line block ×3, first 2 shown]
	s_branch .LBB35_108
.LBB35_107:                             ;   in Loop: Header=BB35_108 Depth=1
	s_ashr_i32 s13, s12, 31
	s_lshl_b64 s[12:13], s[12:13], 2
	s_add_u32 s14, s36, s12
	s_addc_u32 s15, s37, s13
	s_add_u32 s12, s40, s12
	s_addc_u32 s13, s41, s13
	s_add_i32 s10, s10, 1
	s_add_i32 s19, s19, 1
	s_add_u32 s6, s6, 4
	s_addc_u32 s7, s7, 0
	s_add_u32 s8, s8, 4
	s_addc_u32 s9, s9, 0
	s_cmp_lg_u32 s10, s48
	global_store_dword v3, v4, s[14:15]
	global_store_dword v3, v5, s[12:13]
	s_cbranch_scc0 .LBB35_117
.LBB35_108:                             ; =>This Loop Header: Depth=1
                                        ;     Child Loop BB35_109 Depth 2
	s_lshl_b64 s[12:13], s[10:11], 2
	s_mov_b64 s[16:17], s[8:9]
	s_add_u32 s14, s36, s12
	s_addc_u32 s15, s37, s13
	s_add_u32 s12, s40, s12
	s_addc_u32 s13, s41, s13
	s_clause 0x1
	global_load_dword v4, v3, s[14:15]
	global_load_dword v5, v3, s[12:13]
	s_mov_b64 s[12:13], s[6:7]
	s_mov_b32 s20, s19
	.p2align	6
.LBB35_109:                             ;   Parent Loop BB35_108 Depth=1
                                        ; =>  This Inner Loop Header: Depth=2
	global_load_dword v6, v3, s[16:17] offset:-16
	s_add_u32 s14, s16, -16
	s_addc_u32 s15, s17, -1
	s_mov_b32 s22, -1
	s_mov_b32 s23, -1
                                        ; implicit-def: $sgpr21
	s_waitcnt vmcnt(0)
	v_cmp_nlt_f32_e32 vcc_lo, v6, v4
	s_cbranch_vccnz .LBB35_111
; %bb.110:                              ;   in Loop: Header=BB35_109 Depth=2
	global_load_dword v7, v3, s[12:13] offset:-16
	s_add_u32 s30, s12, -16
	s_addc_u32 s31, s13, -1
	s_add_i32 s21, s20, -4
	s_mov_b32 s22, 0
	s_cmp_lt_i32 s21, 8
	global_store_dword v3, v6, s[16:17]
	s_cselect_b32 s23, -1, 0
	s_waitcnt vmcnt(0)
	global_store_dword v3, v7, s[12:13]
	s_mov_b64 s[12:13], s[30:31]
.LBB35_111:                             ;   in Loop: Header=BB35_109 Depth=2
	s_andn2_b32 vcc_lo, exec_lo, s23
	s_cbranch_vccz .LBB35_113
; %bb.112:                              ;   in Loop: Header=BB35_109 Depth=2
	s_mov_b64 s[16:17], s[14:15]
	s_mov_b32 s20, s21
	s_branch .LBB35_109
.LBB35_113:                             ;   in Loop: Header=BB35_108 Depth=1
	s_andn2_b32 vcc_lo, exec_lo, s22
	s_mov_b32 s13, -1
                                        ; implicit-def: $sgpr12
	s_cbranch_vccz .LBB35_115
; %bb.114:                              ;   in Loop: Header=BB35_108 Depth=1
	s_add_i32 s12, s21, -4
	s_mov_b32 s13, 0
.LBB35_115:                             ;   in Loop: Header=BB35_108 Depth=1
	s_andn2_b32 vcc_lo, exec_lo, s13
	s_cbranch_vccnz .LBB35_107
; %bb.116:                              ;   in Loop: Header=BB35_108 Depth=1
	s_add_i32 s12, s20, -4
	s_branch .LBB35_107
.LBB35_117:
	s_cmp_lt_i32 s48, 2
	s_mov_b32 s19, 2
	s_cbranch_scc1 .LBB35_126
; %bb.118:
	s_add_u32 s6, s40, 4
	s_addc_u32 s7, s41, 0
	s_add_u32 s8, s52, s54
	v_mov_b32_e32 v3, 0
	s_addc_u32 s9, s53, s55
	s_add_u32 s8, s8, 4
	s_addc_u32 s9, s9, 0
	s_mov_b32 s10, 1
	s_mov_b32 s11, 0
	s_branch .LBB35_120
.LBB35_119:                             ;   in Loop: Header=BB35_120 Depth=1
	s_ashr_i32 s13, s12, 31
	s_lshl_b64 s[12:13], s[12:13], 2
	s_add_u32 s14, s36, s12
	s_addc_u32 s15, s37, s13
	s_add_u32 s12, s40, s12
	s_addc_u32 s13, s41, s13
	s_add_i32 s10, s10, 1
	s_add_i32 s19, s19, 1
	s_add_u32 s6, s6, 4
	s_addc_u32 s7, s7, 0
	s_add_u32 s8, s8, 4
	s_addc_u32 s9, s9, 0
	s_cmp_eq_u32 s10, s48
	global_store_dword v3, v4, s[14:15]
	global_store_dword v3, v5, s[12:13]
	s_cbranch_scc1 .LBB35_126
.LBB35_120:                             ; =>This Loop Header: Depth=1
                                        ;     Child Loop BB35_122 Depth 2
	s_lshl_b64 s[12:13], s[10:11], 2
	s_mov_b32 s21, s19
	s_add_u32 s14, s36, s12
	s_addc_u32 s15, s37, s13
	s_add_u32 s12, s40, s12
	s_addc_u32 s13, s41, s13
	s_clause 0x1
	global_load_dword v4, v3, s[14:15]
	global_load_dword v5, v3, s[12:13]
	s_mov_b64 s[14:15], s[8:9]
	s_mov_b64 s[12:13], s[6:7]
	s_inst_prefetch 0x1
	s_branch .LBB35_122
	.p2align	6
.LBB35_121:                             ;   in Loop: Header=BB35_122 Depth=2
	s_andn2_b32 vcc_lo, exec_lo, s23
	s_mov_b64 s[14:15], s[16:17]
	s_cbranch_vccz .LBB35_124
.LBB35_122:                             ;   Parent Loop BB35_120 Depth=1
                                        ; =>  This Inner Loop Header: Depth=2
	global_load_dword v6, v3, s[14:15] offset:-4
	s_add_u32 s16, s14, -4
	s_mov_b32 s20, s21
	s_addc_u32 s17, s15, -1
	s_mov_b32 s22, -1
	s_mov_b32 s23, -1
                                        ; implicit-def: $sgpr21
	s_waitcnt vmcnt(0)
	v_cmp_nlt_f32_e32 vcc_lo, v6, v4
	s_cbranch_vccnz .LBB35_121
; %bb.123:                              ;   in Loop: Header=BB35_122 Depth=2
	global_load_dword v7, v3, s[12:13] offset:-4
	s_add_u32 s30, s12, -4
	s_addc_u32 s31, s13, -1
	s_add_i32 s21, s20, -1
	s_mov_b32 s22, 0
	s_cmp_lt_i32 s21, 2
	global_store_dword v3, v6, s[14:15]
	s_cselect_b32 s23, -1, 0
	s_waitcnt vmcnt(0)
	global_store_dword v3, v7, s[12:13]
	s_mov_b64 s[12:13], s[30:31]
	s_branch .LBB35_121
.LBB35_124:                             ;   in Loop: Header=BB35_120 Depth=1
	s_inst_prefetch 0x2
	s_and_b32 vcc_lo, exec_lo, s22
	s_mov_b32 s12, 0
	s_cbranch_vccz .LBB35_119
; %bb.125:                              ;   in Loop: Header=BB35_120 Depth=1
	s_add_i32 s12, s20, -1
	s_branch .LBB35_119
.LBB35_126:
	s_or_b32 exec_lo, exec_lo, s18
	s_cmp_lt_i32 s48, 2
	s_mov_b32 s62, 0
	s_cselect_b32 s9, -1, 0
	s_waitcnt_vscnt null, 0x0
	s_and_b32 vcc_lo, exec_lo, s9
	s_barrier
	buffer_gl0_inv
	s_cbranch_vccnz .LBB35_134
; %bb.127:
	s_add_i32 s8, s48, -1
	s_mov_b32 s9, -1
	s_mov_b32 s6, 0
	s_mov_b32 s7, exec_lo
	v_cmpx_gt_u32_e64 s8, v40
	s_cbranch_execz .LBB35_136
; %bb.128:
	v_mov_b32_e32 v4, 0
	v_mov_b32_e32 v3, v40
	s_mov_b32 s9, 0
                                        ; implicit-def: $sgpr10
	s_inst_prefetch 0x1
	s_branch .LBB35_130
	.p2align	6
.LBB35_129:                             ;   in Loop: Header=BB35_130 Depth=1
	s_or_b32 exec_lo, exec_lo, s13
	s_xor_b32 s11, s12, -1
	s_and_b32 s6, exec_lo, s6
	s_or_b32 s9, s6, s9
	s_andn2_b32 s6, s10, exec_lo
	s_and_b32 s10, s11, exec_lo
	s_or_b32 s10, s6, s10
	s_andn2_b32 exec_lo, exec_lo, s9
	s_cbranch_execz .LBB35_135
.LBB35_130:                             ; =>This Inner Loop Header: Depth=1
	v_lshlrev_b64 v[5:6], 2, v[3:4]
	s_mov_b32 s12, exec_lo
	v_add_co_u32 v5, vcc_lo, s36, v5
	v_add_co_ci_u32_e64 v6, null, s37, v6, vcc_lo
	global_load_dword v7, v[5:6], off
	s_waitcnt vmcnt(0)
	v_cmp_u_f32_e64 s11, v7, v7
	v_cmpx_o_f32_e32 v7, v7
	s_cbranch_execz .LBB35_132
; %bb.131:                              ;   in Loop: Header=BB35_130 Depth=1
	global_load_dword v5, v[5:6], off offset:4
	s_andn2_b32 s11, s11, exec_lo
	s_waitcnt vmcnt(0)
	v_cmp_u_f32_e32 vcc_lo, v5, v5
	v_cmp_ge_f32_e64 s6, v7, v5
	s_or_b32 s6, vcc_lo, s6
	s_and_b32 s6, s6, exec_lo
	s_or_b32 s11, s11, s6
.LBB35_132:                             ;   in Loop: Header=BB35_130 Depth=1
	s_or_b32 exec_lo, exec_lo, s12
	s_mov_b32 s6, -1
	s_mov_b32 s12, -1
	s_and_saveexec_b32 s13, s11
	s_cbranch_execz .LBB35_129
; %bb.133:                              ;   in Loop: Header=BB35_130 Depth=1
	v_add_nc_u32_e32 v3, s46, v3
	s_xor_b32 s12, exec_lo, -1
	v_cmp_le_u32_e32 vcc_lo, s8, v3
	s_orn2_b32 s6, vcc_lo, exec_lo
	s_branch .LBB35_129
.LBB35_134:
	s_mov_b32 s6, 0
	s_branch .LBB35_137
.LBB35_135:
	s_inst_prefetch 0x2
	s_or_b32 exec_lo, exec_lo, s9
	s_mov_b32 s6, exec_lo
	s_orn2_b32 s9, s10, exec_lo
.LBB35_136:
	s_or_b32 exec_lo, exec_lo, s7
.LBB35_137:
	s_and_saveexec_b32 s7, s9
	s_cbranch_execz .LBB35_139
; %bb.138:
	s_mov_b32 s62, exec_lo
	s_barrier
	s_andn2_b32 s6, s6, exec_lo
	buffer_gl0_inv
.LBB35_139:
	s_or_b32 exec_lo, exec_lo, s7
	s_mov_b32 s56, 0
	s_and_saveexec_b32 s63, s6
	s_cbranch_execz .LBB35_141
; %bb.140:
	s_add_u32 s8, s4, 0x90
	s_addc_u32 s9, s5, 0
	s_getpc_b64 s[6:7]
	s_add_u32 s6, s6, __PRETTY_FUNCTION__._ZN9rocsolver6v33100L21shell_sort_descendingIfiEEvT0_PT_PS2_@rel32@lo+4
	s_addc_u32 s7, s7, __PRETTY_FUNCTION__._ZN9rocsolver6v33100L21shell_sort_descendingIfiEEvT0_PT_PS2_@rel32@hi+12
	v_mov_b32_e32 v41, v0
	v_mov_b32_e32 v0, s6
	;; [unrolled: 1-line block ×4, first 2 shown]
	s_getpc_b64 s[10:11]
	s_add_u32 s10, s10, __assert_fail@rel32@lo+4
	s_addc_u32 s11, s11, __assert_fail@rel32@hi+12
	s_mov_b64 s[56:57], s[4:5]
	v_mov_b32_e32 v43, v2
	s_swappc_b64 s[30:31], s[10:11]
	v_mov_b32_e32 v0, v41
	v_mov_b32_e32 v1, v42
	;; [unrolled: 1-line block ×3, first 2 shown]
	s_mov_b64 s[4:5], s[56:57]
	s_mov_b32 s56, exec_lo
.LBB35_141:
	s_or_b32 exec_lo, exec_lo, s63
.LBB35_142:
	s_and_saveexec_b32 s22, s62
	s_cbranch_execz .LBB35_166
; %bb.143:
	s_andn2_b32 vcc_lo, exec_lo, s60
	s_waitcnt_vscnt null, 0x0
	s_barrier
	buffer_gl0_inv
	s_cbranch_vccnz .LBB35_165
; %bb.144:
	s_cmp_gt_i32 s49, 0
	v_cmp_eq_u32_e64 s6, 0, v40
	s_cselect_b32 s23, -1, 0
	s_ashr_i32 s24, s47, 31
	s_cmp_gt_i32 s50, 0
	v_cmp_gt_u32_e64 s7, s49, v40
	v_cmp_gt_u32_e64 s8, s50, v40
	;; [unrolled: 1-line block ×3, first 2 shown]
	v_mov_b32_e32 v4, 0
	s_mov_b32 s11, 0
	s_cselect_b32 s31, -1, 0
	s_cmp_gt_i32 s51, 0
	s_mov_b32 s30, s47
	s_mov_b32 s33, s43
	s_cselect_b32 s57, -1, 0
	s_ashr_i32 s59, s61, 31
	s_mov_b32 s60, s61
	s_mov_b32 s10, s11
	s_branch .LBB35_146
.LBB35_145:                             ;   in Loop: Header=BB35_146 Depth=1
	s_add_i32 s10, s10, 1
	s_cmp_eq_u32 s10, s48
	s_cbranch_scc1 .LBB35_165
.LBB35_146:                             ; =>This Loop Header: Depth=1
                                        ;     Child Loop BB35_149 Depth 2
                                        ;       Child Loop BB35_154 Depth 3
                                        ;       Child Loop BB35_159 Depth 3
	;; [unrolled: 1-line block ×3, first 2 shown]
	s_lshl_b64 s[12:13], s[10:11], 2
	s_add_u32 s12, s40, s12
	s_addc_u32 s13, s41, s13
	global_load_dword v3, v4, s[12:13]
	s_waitcnt vmcnt(0)
	v_cmp_eq_u32_e32 vcc_lo, s10, v3
	v_readfirstlane_b32 s14, v3
	s_cbranch_vccz .LBB35_149
	s_branch .LBB35_145
.LBB35_147:                             ;   in Loop: Header=BB35_149 Depth=2
	s_or_b32 exec_lo, exec_lo, s18
	s_waitcnt_vscnt null, 0x0
	s_barrier
	buffer_gl0_inv
.LBB35_148:                             ;   in Loop: Header=BB35_149 Depth=2
	global_load_dword v3, v4, s[12:13]
	s_waitcnt vmcnt(0)
	v_cmp_ne_u32_e32 vcc_lo, s10, v3
	v_readfirstlane_b32 s14, v3
	s_cbranch_vccz .LBB35_145
.LBB35_149:                             ;   Parent Loop BB35_146 Depth=1
                                        ; =>  This Loop Header: Depth=2
                                        ;       Child Loop BB35_154 Depth 3
                                        ;       Child Loop BB35_159 Depth 3
	;; [unrolled: 1-line block ×3, first 2 shown]
	s_ashr_i32 s15, s14, 31
	s_lshl_b64 s[16:17], s[14:15], 2
	s_add_u32 s18, s40, s16
	s_addc_u32 s19, s41, s17
	global_load_dword v3, v4, s[18:19]
	s_waitcnt vmcnt(0)
	s_barrier
	buffer_gl0_inv
	v_readfirstlane_b32 s16, v3
	s_and_saveexec_b32 s17, s6
	s_cbranch_execz .LBB35_151
; %bb.150:                              ;   in Loop: Header=BB35_149 Depth=2
	v_mov_b32_e32 v3, s14
	v_mov_b32_e32 v5, s16
	global_store_dword v4, v3, s[18:19]
	global_store_dword v4, v5, s[12:13]
.LBB35_151:                             ;   in Loop: Header=BB35_149 Depth=2
	s_or_b32 exec_lo, exec_lo, s17
	s_andn2_b32 vcc_lo, exec_lo, s23
	s_waitcnt_vscnt null, 0x0
	s_barrier
	buffer_gl0_inv
	s_cbranch_vccnz .LBB35_156
; %bb.152:                              ;   in Loop: Header=BB35_149 Depth=2
	s_and_saveexec_b32 s62, s7
	s_cbranch_execz .LBB35_155
; %bb.153:                              ;   in Loop: Header=BB35_149 Depth=2
	v_mov_b32_e32 v3, v40
	s_ashr_i32 s17, s16, 31
	s_mov_b32 s63, 0
	s_lshl_b64 s[18:19], s[14:15], 3
	s_lshl_b64 s[20:21], s[16:17], 3
	.p2align	6
.LBB35_154:                             ;   Parent Loop BB35_146 Depth=1
                                        ;     Parent Loop BB35_149 Depth=2
                                        ; =>    This Inner Loop Header: Depth=3
	v_mad_u64_u32 v[5:6], null, v3, s30, 0
	v_mad_u64_u32 v[6:7], null, v3, s24, v[6:7]
	v_add_nc_u32_e32 v3, s46, v3
	v_lshlrev_b64 v[5:6], 3, v[5:6]
	v_add_co_u32 v7, vcc_lo, s34, v5
	v_add_co_ci_u32_e64 v8, null, s35, v6, vcc_lo
	v_add_co_u32 v5, vcc_lo, v7, s20
	v_add_co_ci_u32_e64 v6, null, s21, v8, vcc_lo
	;; [unrolled: 2-line block ×3, first 2 shown]
	s_clause 0x1
	global_load_dwordx2 v[9:10], v[5:6], off
	global_load_dwordx2 v[11:12], v[7:8], off
	v_cmp_le_u32_e32 vcc_lo, s49, v3
	s_waitcnt vmcnt(1)
	global_store_dwordx2 v[7:8], v[9:10], off
	s_waitcnt vmcnt(0)
	global_store_dwordx2 v[5:6], v[11:12], off
	s_or_b32 s63, vcc_lo, s63
	s_andn2_b32 exec_lo, exec_lo, s63
	s_cbranch_execnz .LBB35_154
.LBB35_155:                             ;   in Loop: Header=BB35_149 Depth=2
	s_or_b32 exec_lo, exec_lo, s62
	s_waitcnt_vscnt null, 0x0
	s_barrier
	buffer_gl0_inv
.LBB35_156:                             ;   in Loop: Header=BB35_149 Depth=2
	s_andn2_b32 vcc_lo, exec_lo, s31
	s_cbranch_vccnz .LBB35_161
; %bb.157:                              ;   in Loop: Header=BB35_149 Depth=2
	s_and_saveexec_b32 s17, s8
	s_cbranch_execz .LBB35_160
; %bb.158:                              ;   in Loop: Header=BB35_149 Depth=2
	s_mul_hi_i32 s19, s14, s33
	s_mul_i32 s18, s14, s33
	s_mul_hi_i32 s21, s16, s33
	s_lshl_b64 s[18:19], s[18:19], 3
	s_mul_i32 s20, s16, s33
	s_add_u32 s18, s28, s18
	s_addc_u32 s19, s29, s19
	s_lshl_b64 s[20:21], s[20:21], 3
	v_mov_b32_e32 v3, v40
	s_add_u32 s20, s28, s20
	s_addc_u32 s21, s29, s21
	s_mov_b32 s62, 0
	.p2align	6
.LBB35_159:                             ;   Parent Loop BB35_146 Depth=1
                                        ;     Parent Loop BB35_149 Depth=2
                                        ; =>    This Inner Loop Header: Depth=3
	v_lshlrev_b64 v[5:6], 3, v[3:4]
	v_add_nc_u32_e32 v3, s46, v3
	v_add_co_u32 v7, vcc_lo, s20, v5
	v_add_co_ci_u32_e64 v8, null, s21, v6, vcc_lo
	v_add_co_u32 v5, vcc_lo, s18, v5
	v_add_co_ci_u32_e64 v6, null, s19, v6, vcc_lo
	s_clause 0x1
	global_load_dwordx2 v[9:10], v[7:8], off
	global_load_dwordx2 v[11:12], v[5:6], off
	v_cmp_le_u32_e32 vcc_lo, s50, v3
	s_waitcnt vmcnt(1)
	global_store_dwordx2 v[5:6], v[9:10], off
	s_waitcnt vmcnt(0)
	global_store_dwordx2 v[7:8], v[11:12], off
	s_or_b32 s62, vcc_lo, s62
	s_andn2_b32 exec_lo, exec_lo, s62
	s_cbranch_execnz .LBB35_159
.LBB35_160:                             ;   in Loop: Header=BB35_149 Depth=2
	s_or_b32 exec_lo, exec_lo, s17
	s_waitcnt_vscnt null, 0x0
	s_barrier
	buffer_gl0_inv
.LBB35_161:                             ;   in Loop: Header=BB35_149 Depth=2
	s_andn2_b32 vcc_lo, exec_lo, s57
	s_cbranch_vccnz .LBB35_148
; %bb.162:                              ;   in Loop: Header=BB35_149 Depth=2
	s_and_saveexec_b32 s18, s9
	s_cbranch_execz .LBB35_147
; %bb.163:                              ;   in Loop: Header=BB35_149 Depth=2
	v_mov_b32_e32 v3, v40
	s_ashr_i32 s17, s16, 31
	s_mov_b32 s19, 0
	s_lshl_b64 s[14:15], s[14:15], 3
	s_lshl_b64 s[16:17], s[16:17], 3
	.p2align	6
.LBB35_164:                             ;   Parent Loop BB35_146 Depth=1
                                        ;     Parent Loop BB35_149 Depth=2
                                        ; =>    This Inner Loop Header: Depth=3
	v_mad_u64_u32 v[5:6], null, v3, s60, 0
	v_mad_u64_u32 v[6:7], null, v3, s59, v[6:7]
	v_add_nc_u32_e32 v3, s46, v3
	v_lshlrev_b64 v[5:6], 3, v[5:6]
	v_add_co_u32 v7, vcc_lo, s44, v5
	v_add_co_ci_u32_e64 v8, null, s45, v6, vcc_lo
	v_add_co_u32 v5, vcc_lo, v7, s16
	v_add_co_ci_u32_e64 v6, null, s17, v8, vcc_lo
	;; [unrolled: 2-line block ×3, first 2 shown]
	s_clause 0x1
	global_load_dwordx2 v[9:10], v[5:6], off
	global_load_dwordx2 v[11:12], v[7:8], off
	v_cmp_le_u32_e32 vcc_lo, s51, v3
	s_waitcnt vmcnt(1)
	global_store_dwordx2 v[7:8], v[9:10], off
	s_waitcnt vmcnt(0)
	global_store_dwordx2 v[5:6], v[11:12], off
	s_or_b32 s19, vcc_lo, s19
	s_andn2_b32 exec_lo, exec_lo, s19
	s_cbranch_execnz .LBB35_164
	s_branch .LBB35_147
.LBB35_165:
	s_mov_b32 s59, exec_lo
.LBB35_166:
	s_or_b32 exec_lo, exec_lo, s22
	s_branch .LBB35_278
.LBB35_167:
	s_and_b32 vcc_lo, exec_lo, s58
	s_mov_b32 s59, -1
	s_cbranch_vccz .LBB35_278
; %bb.168:
	v_or3_b32 v0, v1, v2, v0
	s_mov_b32 s14, exec_lo
	s_waitcnt_vscnt null, 0x0
	s_barrier
	buffer_gl0_inv
	s_barrier
	buffer_gl0_inv
	v_cmpx_eq_u32_e32 0, v0
	s_cbranch_execz .LBB35_262
; %bb.169:
	s_cmpk_lt_u32 s48, 0x2be
	s_cbranch_scc1 .LBB35_181
; %bb.170:
	v_mov_b32_e32 v0, 0
	v_mov_b32_e32 v1, 0x800
	s_movk_i32 s6, 0x2bd
	s_movk_i32 s12, 0x57a
	s_mov_b32 s7, 0
	s_mov_b64 s[8:9], s[36:37]
	s_branch .LBB35_172
.LBB35_171:                             ;   in Loop: Header=BB35_172 Depth=1
	s_ashr_i32 s11, s10, 31
	s_lshl_b64 s[10:11], s[10:11], 2
	s_add_u32 s10, s36, s10
	s_addc_u32 s11, s37, s11
	s_add_i32 s6, s6, 1
	s_add_i32 s12, s12, 1
	s_add_u32 s8, s8, 4
	s_addc_u32 s9, s9, 0
	s_cmp_eq_u32 s6, s48
	global_store_dword v0, v2, s[10:11]
	s_cbranch_scc1 .LBB35_181
.LBB35_172:                             ; =>This Loop Header: Depth=1
                                        ;     Child Loop BB35_173 Depth 2
	s_lshl_b64 s[10:11], s[6:7], 2
	s_mov_b32 s13, s12
	s_add_u32 s10, s36, s10
	s_addc_u32 s11, s37, s11
	global_load_dword v2, v0, s[10:11]
	s_mov_b64 s[10:11], s[8:9]
	.p2align	6
.LBB35_173:                             ;   Parent Loop BB35_172 Depth=1
                                        ; =>  This Inner Loop Header: Depth=2
	global_load_dword v3, v0, s[10:11]
	s_mov_b32 s16, -1
	s_mov_b32 s17, -1
                                        ; implicit-def: $sgpr15
	s_waitcnt vmcnt(0)
	v_cmp_nlt_f32_e32 vcc_lo, v3, v2
	s_cbranch_vccnz .LBB35_175
; %bb.174:                              ;   in Loop: Header=BB35_173 Depth=2
	s_add_i32 s15, s13, 0xfffffd43
	global_store_dword v1, v3, s[10:11] offset:756
	s_add_u32 s10, s10, 0xfffff50c
	s_addc_u32 s11, s11, -1
	s_cmpk_lt_i32 s15, 0x57a
	s_mov_b32 s16, 0
	s_cselect_b32 s17, -1, 0
.LBB35_175:                             ;   in Loop: Header=BB35_173 Depth=2
	s_andn2_b32 vcc_lo, exec_lo, s17
	s_cbranch_vccz .LBB35_177
; %bb.176:                              ;   in Loop: Header=BB35_173 Depth=2
	s_mov_b32 s13, s15
	s_branch .LBB35_173
.LBB35_177:                             ;   in Loop: Header=BB35_172 Depth=1
	s_andn2_b32 vcc_lo, exec_lo, s16
	s_mov_b32 s11, -1
                                        ; implicit-def: $sgpr10
	s_cbranch_vccz .LBB35_179
; %bb.178:                              ;   in Loop: Header=BB35_172 Depth=1
	s_add_i32 s10, s15, 0xfffffd43
	s_mov_b32 s11, 0
.LBB35_179:                             ;   in Loop: Header=BB35_172 Depth=1
	s_andn2_b32 vcc_lo, exec_lo, s11
	s_cbranch_vccnz .LBB35_171
; %bb.180:                              ;   in Loop: Header=BB35_172 Depth=1
	s_add_i32 s10, s13, 0xfffffd43
	s_branch .LBB35_171
.LBB35_181:
	s_cmpk_lt_i32 s48, 0x12e
	s_cbranch_scc1 .LBB35_193
; %bb.182:
	s_add_u32 s6, s52, s54
	v_mov_b32_e32 v0, 0
	s_addc_u32 s7, s53, s55
	s_add_u32 s6, s6, 0x4b4
	s_addc_u32 s7, s7, 0
	s_movk_i32 s8, 0x12d
	s_movk_i32 s15, 0x25a
	s_mov_b32 s9, 0
	s_branch .LBB35_184
.LBB35_183:                             ;   in Loop: Header=BB35_184 Depth=1
	s_ashr_i32 s11, s10, 31
	s_lshl_b64 s[10:11], s[10:11], 2
	s_add_u32 s10, s36, s10
	s_addc_u32 s11, s37, s11
	s_add_i32 s8, s8, 1
	s_add_i32 s15, s15, 1
	s_add_u32 s6, s6, 4
	s_addc_u32 s7, s7, 0
	s_cmp_lg_u32 s8, s48
	global_store_dword v0, v1, s[10:11]
	s_cbranch_scc0 .LBB35_193
.LBB35_184:                             ; =>This Loop Header: Depth=1
                                        ;     Child Loop BB35_185 Depth 2
	s_lshl_b64 s[10:11], s[8:9], 2
	s_mov_b64 s[12:13], s[6:7]
	s_add_u32 s10, s36, s10
	s_addc_u32 s11, s37, s11
	s_mov_b32 s16, s15
	global_load_dword v1, v0, s[10:11]
	.p2align	6
.LBB35_185:                             ;   Parent Loop BB35_184 Depth=1
                                        ; =>  This Inner Loop Header: Depth=2
	global_load_dword v2, v0, s[12:13] offset:-1204
	s_add_u32 s10, s12, 0xfffffb4c
	s_addc_u32 s11, s13, -1
	s_mov_b32 s18, -1
	s_mov_b32 s19, -1
                                        ; implicit-def: $sgpr17
	s_waitcnt vmcnt(0)
	v_cmp_nlt_f32_e32 vcc_lo, v2, v1
	s_cbranch_vccnz .LBB35_187
; %bb.186:                              ;   in Loop: Header=BB35_185 Depth=2
	s_add_i32 s17, s16, 0xfffffed3
	s_mov_b32 s18, 0
	s_cmpk_lt_i32 s17, 0x25a
	global_store_dword v0, v2, s[12:13]
	s_cselect_b32 s19, -1, 0
.LBB35_187:                             ;   in Loop: Header=BB35_185 Depth=2
	s_andn2_b32 vcc_lo, exec_lo, s19
	s_cbranch_vccz .LBB35_189
; %bb.188:                              ;   in Loop: Header=BB35_185 Depth=2
	s_mov_b64 s[12:13], s[10:11]
	s_mov_b32 s16, s17
	s_branch .LBB35_185
.LBB35_189:                             ;   in Loop: Header=BB35_184 Depth=1
	s_andn2_b32 vcc_lo, exec_lo, s18
	s_mov_b32 s11, -1
                                        ; implicit-def: $sgpr10
	s_cbranch_vccz .LBB35_191
; %bb.190:                              ;   in Loop: Header=BB35_184 Depth=1
	s_add_i32 s10, s17, 0xfffffed3
	s_mov_b32 s11, 0
.LBB35_191:                             ;   in Loop: Header=BB35_184 Depth=1
	s_andn2_b32 vcc_lo, exec_lo, s11
	s_cbranch_vccnz .LBB35_183
; %bb.192:                              ;   in Loop: Header=BB35_184 Depth=1
	s_add_i32 s10, s16, 0xfffffed3
	s_branch .LBB35_183
.LBB35_193:
	s_cmpk_lt_i32 s48, 0x85
	s_cbranch_scc1 .LBB35_205
; %bb.194:
	s_add_u32 s6, s52, s54
	v_mov_b32_e32 v0, 0
	s_addc_u32 s7, s53, s55
	s_add_u32 s6, s6, 0x210
	s_addc_u32 s7, s7, 0
	s_movk_i32 s8, 0x84
	s_movk_i32 s15, 0x108
	s_mov_b32 s9, 0
	s_branch .LBB35_196
.LBB35_195:                             ;   in Loop: Header=BB35_196 Depth=1
	s_ashr_i32 s11, s10, 31
	s_lshl_b64 s[10:11], s[10:11], 2
	s_add_u32 s10, s36, s10
	s_addc_u32 s11, s37, s11
	s_add_i32 s8, s8, 1
	s_add_i32 s15, s15, 1
	s_add_u32 s6, s6, 4
	s_addc_u32 s7, s7, 0
	s_cmp_lg_u32 s8, s48
	global_store_dword v0, v1, s[10:11]
	s_cbranch_scc0 .LBB35_205
.LBB35_196:                             ; =>This Loop Header: Depth=1
                                        ;     Child Loop BB35_197 Depth 2
	s_lshl_b64 s[10:11], s[8:9], 2
	s_mov_b64 s[12:13], s[6:7]
	s_add_u32 s10, s36, s10
	s_addc_u32 s11, s37, s11
	s_mov_b32 s16, s15
	global_load_dword v1, v0, s[10:11]
	.p2align	6
.LBB35_197:                             ;   Parent Loop BB35_196 Depth=1
                                        ; =>  This Inner Loop Header: Depth=2
	global_load_dword v2, v0, s[12:13] offset:-528
	s_add_u32 s10, s12, 0xfffffdf0
	s_addc_u32 s11, s13, -1
	s_mov_b32 s18, -1
	s_mov_b32 s19, -1
                                        ; implicit-def: $sgpr17
	s_waitcnt vmcnt(0)
	v_cmp_nlt_f32_e32 vcc_lo, v2, v1
	s_cbranch_vccnz .LBB35_199
; %bb.198:                              ;   in Loop: Header=BB35_197 Depth=2
	s_add_i32 s17, s16, 0xffffff7c
	s_mov_b32 s18, 0
	s_cmpk_lt_i32 s17, 0x108
	global_store_dword v0, v2, s[12:13]
	s_cselect_b32 s19, -1, 0
.LBB35_199:                             ;   in Loop: Header=BB35_197 Depth=2
	s_andn2_b32 vcc_lo, exec_lo, s19
	s_cbranch_vccz .LBB35_201
; %bb.200:                              ;   in Loop: Header=BB35_197 Depth=2
	s_mov_b64 s[12:13], s[10:11]
	s_mov_b32 s16, s17
	s_branch .LBB35_197
.LBB35_201:                             ;   in Loop: Header=BB35_196 Depth=1
	s_andn2_b32 vcc_lo, exec_lo, s18
	s_mov_b32 s11, -1
                                        ; implicit-def: $sgpr10
	s_cbranch_vccz .LBB35_203
; %bb.202:                              ;   in Loop: Header=BB35_196 Depth=1
	s_add_i32 s10, s17, 0xffffff7c
	s_mov_b32 s11, 0
.LBB35_203:                             ;   in Loop: Header=BB35_196 Depth=1
	s_andn2_b32 vcc_lo, exec_lo, s11
	s_cbranch_vccnz .LBB35_195
; %bb.204:                              ;   in Loop: Header=BB35_196 Depth=1
	s_add_i32 s10, s16, 0xffffff7c
	s_branch .LBB35_195
.LBB35_205:
	s_cmp_lt_i32 s48, 58
	s_cbranch_scc1 .LBB35_217
; %bb.206:
	s_add_u32 s6, s52, s54
	v_mov_b32_e32 v0, 0
	s_addc_u32 s7, s53, s55
	s_add_u32 s6, s6, 0xe4
	s_addc_u32 s7, s7, 0
	s_mov_b32 s8, 57
	s_movk_i32 s15, 0x72
	s_mov_b32 s9, 0
	s_branch .LBB35_208
.LBB35_207:                             ;   in Loop: Header=BB35_208 Depth=1
	s_ashr_i32 s11, s10, 31
	s_lshl_b64 s[10:11], s[10:11], 2
	s_add_u32 s10, s36, s10
	s_addc_u32 s11, s37, s11
	s_add_i32 s8, s8, 1
	s_add_i32 s15, s15, 1
	s_add_u32 s6, s6, 4
	s_addc_u32 s7, s7, 0
	s_cmp_lg_u32 s8, s48
	global_store_dword v0, v1, s[10:11]
	s_cbranch_scc0 .LBB35_217
.LBB35_208:                             ; =>This Loop Header: Depth=1
                                        ;     Child Loop BB35_209 Depth 2
	s_lshl_b64 s[10:11], s[8:9], 2
	s_mov_b64 s[12:13], s[6:7]
	s_add_u32 s10, s36, s10
	s_addc_u32 s11, s37, s11
	s_mov_b32 s16, s15
	global_load_dword v1, v0, s[10:11]
	.p2align	6
.LBB35_209:                             ;   Parent Loop BB35_208 Depth=1
                                        ; =>  This Inner Loop Header: Depth=2
	global_load_dword v2, v0, s[12:13] offset:-228
	s_add_u32 s10, s12, 0xffffff1c
	s_addc_u32 s11, s13, -1
	s_mov_b32 s18, -1
	s_mov_b32 s19, -1
                                        ; implicit-def: $sgpr17
	s_waitcnt vmcnt(0)
	v_cmp_nlt_f32_e32 vcc_lo, v2, v1
	s_cbranch_vccnz .LBB35_211
; %bb.210:                              ;   in Loop: Header=BB35_209 Depth=2
	s_sub_i32 s17, s16, 57
	s_mov_b32 s18, 0
	s_cmpk_lt_i32 s17, 0x72
	global_store_dword v0, v2, s[12:13]
	s_cselect_b32 s19, -1, 0
.LBB35_211:                             ;   in Loop: Header=BB35_209 Depth=2
	s_andn2_b32 vcc_lo, exec_lo, s19
	s_cbranch_vccz .LBB35_213
; %bb.212:                              ;   in Loop: Header=BB35_209 Depth=2
	s_mov_b64 s[12:13], s[10:11]
	s_mov_b32 s16, s17
	s_branch .LBB35_209
.LBB35_213:                             ;   in Loop: Header=BB35_208 Depth=1
	s_andn2_b32 vcc_lo, exec_lo, s18
	s_mov_b32 s11, -1
                                        ; implicit-def: $sgpr10
	s_cbranch_vccz .LBB35_215
; %bb.214:                              ;   in Loop: Header=BB35_208 Depth=1
	s_sub_i32 s10, s17, 57
	s_mov_b32 s11, 0
.LBB35_215:                             ;   in Loop: Header=BB35_208 Depth=1
	s_andn2_b32 vcc_lo, exec_lo, s11
	s_cbranch_vccnz .LBB35_207
; %bb.216:                              ;   in Loop: Header=BB35_208 Depth=1
	s_sub_i32 s10, s16, 57
	s_branch .LBB35_207
.LBB35_217:
	s_cmp_lt_i32 s48, 24
	s_cbranch_scc1 .LBB35_229
; %bb.218:
	s_add_u32 s6, s52, s54
	v_mov_b32_e32 v0, 0
	s_addc_u32 s7, s53, s55
	s_add_u32 s6, s6, 0x5c
	s_addc_u32 s7, s7, 0
	s_mov_b32 s8, 23
	s_mov_b32 s15, 46
	;; [unrolled: 1-line block ×3, first 2 shown]
	s_branch .LBB35_220
.LBB35_219:                             ;   in Loop: Header=BB35_220 Depth=1
	s_ashr_i32 s11, s10, 31
	s_lshl_b64 s[10:11], s[10:11], 2
	s_add_u32 s10, s36, s10
	s_addc_u32 s11, s37, s11
	s_add_i32 s8, s8, 1
	s_add_i32 s15, s15, 1
	s_add_u32 s6, s6, 4
	s_addc_u32 s7, s7, 0
	s_cmp_lg_u32 s8, s48
	global_store_dword v0, v1, s[10:11]
	s_cbranch_scc0 .LBB35_229
.LBB35_220:                             ; =>This Loop Header: Depth=1
                                        ;     Child Loop BB35_221 Depth 2
	s_lshl_b64 s[10:11], s[8:9], 2
	s_mov_b64 s[12:13], s[6:7]
	s_add_u32 s10, s36, s10
	s_addc_u32 s11, s37, s11
	s_mov_b32 s16, s15
	global_load_dword v1, v0, s[10:11]
	.p2align	6
.LBB35_221:                             ;   Parent Loop BB35_220 Depth=1
                                        ; =>  This Inner Loop Header: Depth=2
	global_load_dword v2, v0, s[12:13] offset:-92
	s_add_u32 s10, s12, 0xffffffa4
	s_addc_u32 s11, s13, -1
	s_mov_b32 s18, -1
	s_mov_b32 s19, -1
                                        ; implicit-def: $sgpr17
	s_waitcnt vmcnt(0)
	v_cmp_nlt_f32_e32 vcc_lo, v2, v1
	s_cbranch_vccnz .LBB35_223
; %bb.222:                              ;   in Loop: Header=BB35_221 Depth=2
	s_sub_i32 s17, s16, 23
	s_mov_b32 s18, 0
	s_cmp_lt_i32 s17, 46
	global_store_dword v0, v2, s[12:13]
	s_cselect_b32 s19, -1, 0
.LBB35_223:                             ;   in Loop: Header=BB35_221 Depth=2
	s_andn2_b32 vcc_lo, exec_lo, s19
	s_cbranch_vccz .LBB35_225
; %bb.224:                              ;   in Loop: Header=BB35_221 Depth=2
	s_mov_b64 s[12:13], s[10:11]
	s_mov_b32 s16, s17
	s_branch .LBB35_221
.LBB35_225:                             ;   in Loop: Header=BB35_220 Depth=1
	s_andn2_b32 vcc_lo, exec_lo, s18
	s_mov_b32 s11, -1
                                        ; implicit-def: $sgpr10
	s_cbranch_vccz .LBB35_227
; %bb.226:                              ;   in Loop: Header=BB35_220 Depth=1
	s_sub_i32 s10, s17, 23
	s_mov_b32 s11, 0
.LBB35_227:                             ;   in Loop: Header=BB35_220 Depth=1
	s_andn2_b32 vcc_lo, exec_lo, s11
	s_cbranch_vccnz .LBB35_219
; %bb.228:                              ;   in Loop: Header=BB35_220 Depth=1
	s_sub_i32 s10, s16, 23
	s_branch .LBB35_219
.LBB35_229:
	s_cmp_lt_i32 s48, 11
	s_cbranch_scc1 .LBB35_241
; %bb.230:
	s_add_u32 s6, s52, s54
	v_mov_b32_e32 v0, 0
	s_addc_u32 s7, s53, s55
	s_add_u32 s6, s6, 40
	s_addc_u32 s7, s7, 0
	s_mov_b32 s8, 10
	s_mov_b32 s15, 20
	;; [unrolled: 1-line block ×3, first 2 shown]
	s_branch .LBB35_232
.LBB35_231:                             ;   in Loop: Header=BB35_232 Depth=1
	s_ashr_i32 s11, s10, 31
	s_lshl_b64 s[10:11], s[10:11], 2
	s_add_u32 s10, s36, s10
	s_addc_u32 s11, s37, s11
	s_add_i32 s8, s8, 1
	s_add_i32 s15, s15, 1
	s_add_u32 s6, s6, 4
	s_addc_u32 s7, s7, 0
	s_cmp_lg_u32 s8, s48
	global_store_dword v0, v1, s[10:11]
	s_cbranch_scc0 .LBB35_241
.LBB35_232:                             ; =>This Loop Header: Depth=1
                                        ;     Child Loop BB35_233 Depth 2
	s_lshl_b64 s[10:11], s[8:9], 2
	s_mov_b64 s[12:13], s[6:7]
	s_add_u32 s10, s36, s10
	s_addc_u32 s11, s37, s11
	s_mov_b32 s16, s15
	global_load_dword v1, v0, s[10:11]
	.p2align	6
.LBB35_233:                             ;   Parent Loop BB35_232 Depth=1
                                        ; =>  This Inner Loop Header: Depth=2
	global_load_dword v2, v0, s[12:13] offset:-40
	s_add_u32 s10, s12, 0xffffffd8
	s_addc_u32 s11, s13, -1
	s_mov_b32 s18, -1
	s_mov_b32 s19, -1
                                        ; implicit-def: $sgpr17
	s_waitcnt vmcnt(0)
	v_cmp_nlt_f32_e32 vcc_lo, v2, v1
	s_cbranch_vccnz .LBB35_235
; %bb.234:                              ;   in Loop: Header=BB35_233 Depth=2
	s_add_i32 s17, s16, -10
	s_mov_b32 s18, 0
	s_cmp_lt_i32 s17, 20
	global_store_dword v0, v2, s[12:13]
	s_cselect_b32 s19, -1, 0
.LBB35_235:                             ;   in Loop: Header=BB35_233 Depth=2
	s_andn2_b32 vcc_lo, exec_lo, s19
	s_cbranch_vccz .LBB35_237
; %bb.236:                              ;   in Loop: Header=BB35_233 Depth=2
	s_mov_b64 s[12:13], s[10:11]
	s_mov_b32 s16, s17
	s_branch .LBB35_233
.LBB35_237:                             ;   in Loop: Header=BB35_232 Depth=1
	s_andn2_b32 vcc_lo, exec_lo, s18
	s_mov_b32 s11, -1
                                        ; implicit-def: $sgpr10
	s_cbranch_vccz .LBB35_239
; %bb.238:                              ;   in Loop: Header=BB35_232 Depth=1
	s_add_i32 s10, s17, -10
	s_mov_b32 s11, 0
.LBB35_239:                             ;   in Loop: Header=BB35_232 Depth=1
	s_andn2_b32 vcc_lo, exec_lo, s11
	s_cbranch_vccnz .LBB35_231
; %bb.240:                              ;   in Loop: Header=BB35_232 Depth=1
	s_add_i32 s10, s16, -10
	s_branch .LBB35_231
.LBB35_241:
	s_cmp_lt_i32 s48, 5
	s_cbranch_scc1 .LBB35_253
; %bb.242:
	s_add_u32 s6, s52, s54
	v_mov_b32_e32 v0, 0
	s_addc_u32 s7, s53, s55
	s_add_u32 s6, s6, 16
	s_addc_u32 s7, s7, 0
	s_mov_b32 s8, 4
	s_mov_b32 s15, 8
	;; [unrolled: 1-line block ×3, first 2 shown]
	s_inst_prefetch 0x1
	s_branch .LBB35_244
	.p2align	6
.LBB35_243:                             ;   in Loop: Header=BB35_244 Depth=1
	s_ashr_i32 s11, s10, 31
	s_lshl_b64 s[10:11], s[10:11], 2
	s_add_u32 s10, s36, s10
	s_addc_u32 s11, s37, s11
	s_add_i32 s8, s8, 1
	s_add_i32 s15, s15, 1
	s_add_u32 s6, s6, 4
	s_addc_u32 s7, s7, 0
	s_cmp_lg_u32 s8, s48
	global_store_dword v0, v1, s[10:11]
	s_cbranch_scc0 .LBB35_253
.LBB35_244:                             ; =>This Loop Header: Depth=1
                                        ;     Child Loop BB35_245 Depth 2
	s_lshl_b64 s[10:11], s[8:9], 2
	s_mov_b64 s[12:13], s[6:7]
	s_add_u32 s10, s36, s10
	s_addc_u32 s11, s37, s11
	s_mov_b32 s16, s15
	global_load_dword v1, v0, s[10:11]
	.p2align	6
.LBB35_245:                             ;   Parent Loop BB35_244 Depth=1
                                        ; =>  This Inner Loop Header: Depth=2
	global_load_dword v2, v0, s[12:13] offset:-16
	s_add_u32 s10, s12, -16
	s_addc_u32 s11, s13, -1
	s_mov_b32 s18, -1
	s_mov_b32 s19, -1
                                        ; implicit-def: $sgpr17
	s_waitcnt vmcnt(0)
	v_cmp_nlt_f32_e32 vcc_lo, v2, v1
	s_cbranch_vccnz .LBB35_247
; %bb.246:                              ;   in Loop: Header=BB35_245 Depth=2
	s_add_i32 s17, s16, -4
	s_mov_b32 s18, 0
	s_cmp_lt_i32 s17, 8
	global_store_dword v0, v2, s[12:13]
	s_cselect_b32 s19, -1, 0
.LBB35_247:                             ;   in Loop: Header=BB35_245 Depth=2
	s_andn2_b32 vcc_lo, exec_lo, s19
	s_cbranch_vccz .LBB35_249
; %bb.248:                              ;   in Loop: Header=BB35_245 Depth=2
	s_mov_b64 s[12:13], s[10:11]
	s_mov_b32 s16, s17
	s_branch .LBB35_245
.LBB35_249:                             ;   in Loop: Header=BB35_244 Depth=1
	s_andn2_b32 vcc_lo, exec_lo, s18
	s_mov_b32 s11, -1
                                        ; implicit-def: $sgpr10
	s_cbranch_vccz .LBB35_251
; %bb.250:                              ;   in Loop: Header=BB35_244 Depth=1
	s_add_i32 s10, s17, -4
	s_mov_b32 s11, 0
.LBB35_251:                             ;   in Loop: Header=BB35_244 Depth=1
	s_andn2_b32 vcc_lo, exec_lo, s11
	s_cbranch_vccnz .LBB35_243
; %bb.252:                              ;   in Loop: Header=BB35_244 Depth=1
	s_add_i32 s10, s16, -4
	s_branch .LBB35_243
.LBB35_253:
	s_inst_prefetch 0x2
	s_cmp_lt_i32 s48, 2
	s_mov_b32 s15, 2
	s_cbranch_scc1 .LBB35_262
; %bb.254:
	s_add_u32 s6, s52, s54
	v_mov_b32_e32 v0, 0
	s_addc_u32 s7, s53, s55
	s_add_u32 s6, s6, 4
	s_addc_u32 s7, s7, 0
	s_mov_b32 s8, 1
	s_mov_b32 s9, 0
	s_inst_prefetch 0x1
	s_branch .LBB35_256
	.p2align	6
.LBB35_255:                             ;   in Loop: Header=BB35_256 Depth=1
	s_ashr_i32 s11, s10, 31
	s_lshl_b64 s[10:11], s[10:11], 2
	s_add_u32 s10, s36, s10
	s_addc_u32 s11, s37, s11
	s_add_i32 s8, s8, 1
	s_add_i32 s15, s15, 1
	s_add_u32 s6, s6, 4
	s_addc_u32 s7, s7, 0
	s_cmp_eq_u32 s8, s48
	global_store_dword v0, v1, s[10:11]
	s_cbranch_scc1 .LBB35_262
.LBB35_256:                             ; =>This Loop Header: Depth=1
                                        ;     Child Loop BB35_258 Depth 2
	s_lshl_b64 s[10:11], s[8:9], 2
	s_mov_b64 s[12:13], s[6:7]
	s_add_u32 s10, s36, s10
	s_addc_u32 s11, s37, s11
	s_mov_b32 s17, s15
	global_load_dword v1, v0, s[10:11]
	s_branch .LBB35_258
	.p2align	6
.LBB35_257:                             ;   in Loop: Header=BB35_258 Depth=2
	s_andn2_b32 vcc_lo, exec_lo, s19
	s_mov_b64 s[12:13], s[10:11]
	s_cbranch_vccz .LBB35_260
.LBB35_258:                             ;   Parent Loop BB35_256 Depth=1
                                        ; =>  This Inner Loop Header: Depth=2
	global_load_dword v2, v0, s[12:13] offset:-4
	s_add_u32 s10, s12, -4
	s_mov_b32 s16, s17
	s_addc_u32 s11, s13, -1
	s_mov_b32 s18, -1
	s_mov_b32 s19, -1
                                        ; implicit-def: $sgpr17
	s_waitcnt vmcnt(0)
	v_cmp_nlt_f32_e32 vcc_lo, v2, v1
	s_cbranch_vccnz .LBB35_257
; %bb.259:                              ;   in Loop: Header=BB35_258 Depth=2
	s_add_i32 s17, s16, -1
	s_mov_b32 s18, 0
	s_cmp_lt_i32 s17, 2
	global_store_dword v0, v2, s[12:13]
	s_cselect_b32 s19, -1, 0
	s_branch .LBB35_257
.LBB35_260:                             ;   in Loop: Header=BB35_256 Depth=1
	s_and_b32 vcc_lo, exec_lo, s18
	s_mov_b32 s10, 0
	s_cbranch_vccz .LBB35_255
; %bb.261:                              ;   in Loop: Header=BB35_256 Depth=1
	s_add_i32 s10, s16, -1
	s_branch .LBB35_255
.LBB35_262:
	s_inst_prefetch 0x2
	s_or_b32 exec_lo, exec_lo, s14
	s_cmp_lt_i32 s48, 2
	s_mov_b32 s59, 0
	s_cselect_b32 s9, -1, 0
	s_waitcnt_vscnt null, 0x0
	s_and_b32 vcc_lo, exec_lo, s9
	s_barrier
	buffer_gl0_inv
	s_cbranch_vccnz .LBB35_270
; %bb.263:
	s_add_i32 s8, s48, -1
	s_mov_b32 s9, -1
	s_mov_b32 s6, 0
	s_mov_b32 s7, exec_lo
	v_cmpx_gt_u32_e64 s8, v40
	s_cbranch_execz .LBB35_272
; %bb.264:
	v_mov_b32_e32 v1, 0
	v_mov_b32_e32 v0, v40
	s_mov_b32 s9, 0
                                        ; implicit-def: $sgpr10
	s_inst_prefetch 0x1
	s_branch .LBB35_266
	.p2align	6
.LBB35_265:                             ;   in Loop: Header=BB35_266 Depth=1
	s_or_b32 exec_lo, exec_lo, s13
	s_xor_b32 s11, s12, -1
	s_and_b32 s6, exec_lo, s6
	s_or_b32 s9, s6, s9
	s_andn2_b32 s6, s10, exec_lo
	s_and_b32 s10, s11, exec_lo
	s_or_b32 s10, s6, s10
	s_andn2_b32 exec_lo, exec_lo, s9
	s_cbranch_execz .LBB35_271
.LBB35_266:                             ; =>This Inner Loop Header: Depth=1
	v_lshlrev_b64 v[2:3], 2, v[0:1]
	s_mov_b32 s12, exec_lo
	v_add_co_u32 v2, vcc_lo, s36, v2
	v_add_co_ci_u32_e64 v3, null, s37, v3, vcc_lo
	global_load_dword v4, v[2:3], off
	s_waitcnt vmcnt(0)
	v_cmp_u_f32_e64 s11, v4, v4
	v_cmpx_o_f32_e32 v4, v4
	s_cbranch_execz .LBB35_268
; %bb.267:                              ;   in Loop: Header=BB35_266 Depth=1
	global_load_dword v2, v[2:3], off offset:4
	s_andn2_b32 s11, s11, exec_lo
	s_waitcnt vmcnt(0)
	v_cmp_u_f32_e32 vcc_lo, v2, v2
	v_cmp_ge_f32_e64 s6, v4, v2
	s_or_b32 s6, vcc_lo, s6
	s_and_b32 s6, s6, exec_lo
	s_or_b32 s11, s11, s6
.LBB35_268:                             ;   in Loop: Header=BB35_266 Depth=1
	s_or_b32 exec_lo, exec_lo, s12
	s_mov_b32 s6, -1
	s_mov_b32 s12, -1
	s_and_saveexec_b32 s13, s11
	s_cbranch_execz .LBB35_265
; %bb.269:                              ;   in Loop: Header=BB35_266 Depth=1
	v_add_nc_u32_e32 v0, s46, v0
	s_xor_b32 s12, exec_lo, -1
	v_cmp_le_u32_e32 vcc_lo, s8, v0
	s_orn2_b32 s6, vcc_lo, exec_lo
	s_branch .LBB35_265
.LBB35_270:
	s_mov_b32 s6, 0
	s_branch .LBB35_273
.LBB35_271:
	s_inst_prefetch 0x2
	s_or_b32 exec_lo, exec_lo, s9
	s_mov_b32 s6, exec_lo
	s_orn2_b32 s9, s10, exec_lo
.LBB35_272:
	s_or_b32 exec_lo, exec_lo, s7
.LBB35_273:
	s_and_saveexec_b32 s7, s9
	s_cbranch_execz .LBB35_275
; %bb.274:
	s_mov_b32 s59, exec_lo
	s_barrier
	s_andn2_b32 s6, s6, exec_lo
	buffer_gl0_inv
.LBB35_275:
	s_or_b32 exec_lo, exec_lo, s7
	s_and_saveexec_b32 s40, s6
	s_cbranch_execz .LBB35_277
; %bb.276:
	s_add_u32 s8, s4, 0x90
	s_addc_u32 s9, s5, 0
	s_getpc_b64 s[4:5]
	s_add_u32 s4, s4, __PRETTY_FUNCTION__._ZN9rocsolver6v33100L21shell_sort_descendingIfiEEvT0_PT_PS2_@rel32@lo+4
	s_addc_u32 s5, s5, __PRETTY_FUNCTION__._ZN9rocsolver6v33100L21shell_sort_descendingIfiEEvT0_PT_PS2_@rel32@hi+12
	v_mov_b32_e32 v0, s4
	v_mov_b32_e32 v1, s5
	s_getpc_b64 s[6:7]
	s_add_u32 s6, s6, __assert_fail@rel32@lo+4
	s_addc_u32 s7, s7, __assert_fail@rel32@hi+12
	s_swappc_b64 s[30:31], s[6:7]
	s_or_b32 s56, s56, exec_lo
.LBB35_277:
	s_or_b32 exec_lo, exec_lo, s40
.LBB35_278:
	s_and_saveexec_b32 s4, s56
; %bb.279:
	; divergent unreachable
; %bb.280:
	s_or_b32 exec_lo, exec_lo, s4
	s_and_saveexec_b32 s4, s59
	s_cbranch_execz .LBB35_282
; %bb.281:
	s_waitcnt_vscnt null, 0x0
	s_barrier
	buffer_gl0_inv
.LBB35_282:
	s_or_b32 exec_lo, exec_lo, s4
	s_cbranch_execnz .LBB35_306
.LBB35_283:
	s_cmp_lt_i32 s48, 2
	s_cbranch_scc1 .LBB35_306
; %bb.284:
	s_cmp_lg_u32 s49, 0
	v_mul_lo_u32 v0, s47, v40
	s_cselect_b32 s18, -1, 0
	s_cmp_lg_u32 s50, 0
	v_mul_lo_u32 v1, s61, v40
	s_cselect_b32 s19, -1, 0
	s_cmp_lg_u32 s51, 0
	v_cmp_eq_u32_e64 s4, 0, v40
	s_cselect_b32 s20, -1, 0
	s_add_i32 s21, s48, -2
	v_cmp_gt_i32_e64 s5, s49, v40
	v_cmp_gt_i32_e64 s6, s50, v40
	;; [unrolled: 1-line block ×3, first 2 shown]
	s_add_u32 s8, s52, s54
	v_mov_b32_e32 v2, 0
	s_addc_u32 s11, s53, s55
	s_add_u32 s10, s8, 4
	s_mov_b32 s9, 0
	s_addc_u32 s11, s11, 0
	s_mul_i32 s22, s47, s25
	s_mul_i32 s23, s61, s25
	s_mov_b32 s24, 0
	s_mov_b32 s30, 0
	s_branch .LBB35_287
.LBB35_285:                             ;   in Loop: Header=BB35_287 Depth=1
	s_or_b32 exec_lo, exec_lo, s13
	s_waitcnt_vscnt null, 0x0
	s_barrier
	buffer_gl0_inv
.LBB35_286:                             ;   in Loop: Header=BB35_287 Depth=1
	s_add_u32 s10, s10, 4
	s_addc_u32 s11, s11, 0
	s_add_i32 s24, s24, s43
	s_cmp_eq_u32 s8, s21
	s_cbranch_scc1 .LBB35_306
.LBB35_287:                             ; =>This Loop Header: Depth=1
                                        ;     Child Loop BB35_288 Depth 2
                                        ;     Child Loop BB35_295 Depth 2
	;; [unrolled: 1-line block ×4, first 2 shown]
	s_mov_b32 s8, s30
	s_mov_b64 s[16:17], s[10:11]
	s_lshl_b64 s[12:13], s[8:9], 2
	s_add_u32 s14, s36, s12
	s_addc_u32 s15, s37, s13
	s_add_i32 s30, s30, 1
	global_load_dword v3, v2, s[14:15]
	s_mov_b32 s13, s30
	s_mov_b32 s12, s8
.LBB35_288:                             ;   Parent Loop BB35_287 Depth=1
                                        ; =>  This Inner Loop Header: Depth=2
	global_load_dword v4, v2, s[16:17]
	s_waitcnt vmcnt(0)
	v_cmp_gt_f32_e32 vcc_lo, v4, v3
	s_and_b32 s31, vcc_lo, exec_lo
	v_cndmask_b32_e32 v3, v3, v4, vcc_lo
	s_cselect_b32 s12, s13, s12
	s_add_i32 s13, s13, 1
	s_add_u32 s16, s16, 4
	s_addc_u32 s17, s17, 0
	s_cmp_lg_u32 s48, s13
	s_cbranch_scc1 .LBB35_288
; %bb.289:                              ;   in Loop: Header=BB35_287 Depth=1
	s_cmp_eq_u32 s12, s8
	s_waitcnt_vscnt null, 0x0
	s_barrier
	buffer_gl0_inv
	s_cbranch_scc1 .LBB35_286
; %bb.290:                              ;   in Loop: Header=BB35_287 Depth=1
	s_and_saveexec_b32 s16, s4
	s_cbranch_execz .LBB35_292
; %bb.291:                              ;   in Loop: Header=BB35_287 Depth=1
	global_load_dword v4, v2, s[14:15]
	s_ashr_i32 s13, s12, 31
	s_lshl_b64 s[40:41], s[12:13], 2
	s_add_u32 s40, s36, s40
	s_addc_u32 s41, s37, s41
	s_waitcnt vmcnt(0)
	global_store_dword v2, v4, s[40:41]
	global_store_dword v2, v3, s[14:15]
.LBB35_292:                             ;   in Loop: Header=BB35_287 Depth=1
	s_or_b32 exec_lo, exec_lo, s16
	s_andn2_b32 vcc_lo, exec_lo, s18
	s_cbranch_vccnz .LBB35_297
; %bb.293:                              ;   in Loop: Header=BB35_287 Depth=1
	s_and_saveexec_b32 s13, s5
	s_cbranch_execz .LBB35_296
; %bb.294:                              ;   in Loop: Header=BB35_287 Depth=1
	v_mov_b32_e32 v3, v0
	v_mov_b32_e32 v4, v40
	s_mov_b32 s14, 0
	.p2align	6
.LBB35_295:                             ;   Parent Loop BB35_287 Depth=1
                                        ; =>  This Inner Loop Header: Depth=2
	v_add_nc_u32_e32 v5, s8, v3
	v_add_nc_u32_e32 v7, s12, v3
	;; [unrolled: 1-line block ×4, first 2 shown]
	v_ashrrev_i32_e32 v6, 31, v5
	v_ashrrev_i32_e32 v8, 31, v7
	v_lshlrev_b64 v[5:6], 3, v[5:6]
	v_lshlrev_b64 v[7:8], 3, v[7:8]
	v_add_co_u32 v5, vcc_lo, s34, v5
	v_add_co_ci_u32_e64 v6, null, s35, v6, vcc_lo
	v_add_co_u32 v7, vcc_lo, s34, v7
	v_add_co_ci_u32_e64 v8, null, s35, v8, vcc_lo
	s_clause 0x1
	global_load_dwordx2 v[9:10], v[5:6], off
	global_load_dwordx2 v[11:12], v[7:8], off
	v_cmp_le_i32_e32 vcc_lo, s49, v4
	s_waitcnt vmcnt(1)
	global_store_dwordx2 v[7:8], v[9:10], off
	s_waitcnt vmcnt(0)
	global_store_dwordx2 v[5:6], v[11:12], off
	s_or_b32 s14, vcc_lo, s14
	s_andn2_b32 exec_lo, exec_lo, s14
	s_cbranch_execnz .LBB35_295
.LBB35_296:                             ;   in Loop: Header=BB35_287 Depth=1
	s_or_b32 exec_lo, exec_lo, s13
	s_waitcnt_vscnt null, 0x0
	s_barrier
	buffer_gl0_inv
.LBB35_297:                             ;   in Loop: Header=BB35_287 Depth=1
	s_andn2_b32 vcc_lo, exec_lo, s19
	s_cbranch_vccnz .LBB35_302
; %bb.298:                              ;   in Loop: Header=BB35_287 Depth=1
	s_and_saveexec_b32 s13, s6
	s_cbranch_execz .LBB35_301
; %bb.299:                              ;   in Loop: Header=BB35_287 Depth=1
	v_mov_b32_e32 v3, v40
	s_mul_i32 s14, s12, s43
	s_mov_b32 s15, 0
	.p2align	6
.LBB35_300:                             ;   Parent Loop BB35_287 Depth=1
                                        ; =>  This Inner Loop Header: Depth=2
	v_add_nc_u32_e32 v4, s24, v3
	v_add_nc_u32_e32 v6, s14, v3
	;; [unrolled: 1-line block ×3, first 2 shown]
	v_ashrrev_i32_e32 v5, 31, v4
	v_ashrrev_i32_e32 v7, 31, v6
	v_lshlrev_b64 v[4:5], 3, v[4:5]
	v_lshlrev_b64 v[6:7], 3, v[6:7]
	v_add_co_u32 v4, vcc_lo, s28, v4
	v_add_co_ci_u32_e64 v5, null, s29, v5, vcc_lo
	v_add_co_u32 v6, vcc_lo, s28, v6
	v_add_co_ci_u32_e64 v7, null, s29, v7, vcc_lo
	s_clause 0x1
	global_load_dwordx2 v[8:9], v[4:5], off
	global_load_dwordx2 v[10:11], v[6:7], off
	v_cmp_le_i32_e32 vcc_lo, s50, v3
	s_waitcnt vmcnt(1)
	global_store_dwordx2 v[6:7], v[8:9], off
	s_waitcnt vmcnt(0)
	global_store_dwordx2 v[4:5], v[10:11], off
	s_or_b32 s15, vcc_lo, s15
	s_andn2_b32 exec_lo, exec_lo, s15
	s_cbranch_execnz .LBB35_300
.LBB35_301:                             ;   in Loop: Header=BB35_287 Depth=1
	s_or_b32 exec_lo, exec_lo, s13
	s_waitcnt_vscnt null, 0x0
	s_barrier
	buffer_gl0_inv
.LBB35_302:                             ;   in Loop: Header=BB35_287 Depth=1
	s_andn2_b32 vcc_lo, exec_lo, s20
	s_cbranch_vccnz .LBB35_286
; %bb.303:                              ;   in Loop: Header=BB35_287 Depth=1
	s_and_saveexec_b32 s13, s7
	s_cbranch_execz .LBB35_285
; %bb.304:                              ;   in Loop: Header=BB35_287 Depth=1
	v_mov_b32_e32 v3, v1
	v_mov_b32_e32 v4, v40
	s_mov_b32 s14, 0
	.p2align	6
.LBB35_305:                             ;   Parent Loop BB35_287 Depth=1
                                        ; =>  This Inner Loop Header: Depth=2
	v_add_nc_u32_e32 v5, s8, v3
	v_add_nc_u32_e32 v7, s12, v3
	v_add_nc_u32_e32 v4, s25, v4
	v_add_nc_u32_e32 v3, s23, v3
	v_ashrrev_i32_e32 v6, 31, v5
	v_ashrrev_i32_e32 v8, 31, v7
	v_lshlrev_b64 v[5:6], 3, v[5:6]
	v_lshlrev_b64 v[7:8], 3, v[7:8]
	v_add_co_u32 v5, vcc_lo, s44, v5
	v_add_co_ci_u32_e64 v6, null, s45, v6, vcc_lo
	v_add_co_u32 v7, vcc_lo, s44, v7
	v_add_co_ci_u32_e64 v8, null, s45, v8, vcc_lo
	s_clause 0x1
	global_load_dwordx2 v[9:10], v[5:6], off
	global_load_dwordx2 v[11:12], v[7:8], off
	v_cmp_le_i32_e32 vcc_lo, s51, v4
	s_waitcnt vmcnt(1)
	global_store_dwordx2 v[7:8], v[9:10], off
	s_waitcnt vmcnt(0)
	global_store_dwordx2 v[5:6], v[11:12], off
	s_or_b32 s14, vcc_lo, s14
	s_andn2_b32 exec_lo, exec_lo, s14
	s_cbranch_execnz .LBB35_305
	s_branch .LBB35_285
.LBB35_306:
	s_mov_b32 s6, 0
.LBB35_307:
	s_andn2_b32 vcc_lo, exec_lo, s6
	s_cbranch_vccnz .LBB35_310
; %bb.308:
	s_mov_b32 s4, exec_lo
	v_cmpx_eq_u32_e32 0, v40
	s_cbranch_execz .LBB35_310
; %bb.309:
	v_mov_b32_e32 v0, 0
	v_mov_b32_e32 v1, s42
	s_add_u32 s4, s38, s26
	s_addc_u32 s5, s39, s27
	global_store_dword v0, v1, s[4:5]
.LBB35_310:
	s_endpgm
	.section	.rodata,"a",@progbits
	.p2align	6, 0x0
	.amdhsa_kernel _ZN9rocsolver6v33100L14bdsqr_finalizeI19rocblas_complex_numIfEfPS3_S4_S4_EEviiiiPT0_lS6_lT1_iilT2_iilT3_iilPiSA_SA_
		.amdhsa_group_segment_fixed_size 0
		.amdhsa_private_segment_fixed_size 64
		.amdhsa_kernarg_size 400
		.amdhsa_user_sgpr_count 8
		.amdhsa_user_sgpr_private_segment_buffer 1
		.amdhsa_user_sgpr_dispatch_ptr 0
		.amdhsa_user_sgpr_queue_ptr 0
		.amdhsa_user_sgpr_kernarg_segment_ptr 1
		.amdhsa_user_sgpr_dispatch_id 0
		.amdhsa_user_sgpr_flat_scratch_init 1
		.amdhsa_user_sgpr_private_segment_size 0
		.amdhsa_wavefront_size32 1
		.amdhsa_uses_dynamic_stack 0
		.amdhsa_system_sgpr_private_segment_wavefront_offset 1
		.amdhsa_system_sgpr_workgroup_id_x 1
		.amdhsa_system_sgpr_workgroup_id_y 1
		.amdhsa_system_sgpr_workgroup_id_z 0
		.amdhsa_system_sgpr_workgroup_info 0
		.amdhsa_system_vgpr_workitem_id 2
		.amdhsa_next_free_vgpr 44
		.amdhsa_next_free_sgpr 64
		.amdhsa_reserve_vcc 1
		.amdhsa_reserve_flat_scratch 1
		.amdhsa_float_round_mode_32 0
		.amdhsa_float_round_mode_16_64 0
		.amdhsa_float_denorm_mode_32 3
		.amdhsa_float_denorm_mode_16_64 3
		.amdhsa_dx10_clamp 1
		.amdhsa_ieee_mode 1
		.amdhsa_fp16_overflow 0
		.amdhsa_workgroup_processor_mode 1
		.amdhsa_memory_ordered 1
		.amdhsa_forward_progress 1
		.amdhsa_shared_vgpr_count 0
		.amdhsa_exception_fp_ieee_invalid_op 0
		.amdhsa_exception_fp_denorm_src 0
		.amdhsa_exception_fp_ieee_div_zero 0
		.amdhsa_exception_fp_ieee_overflow 0
		.amdhsa_exception_fp_ieee_underflow 0
		.amdhsa_exception_fp_ieee_inexact 0
		.amdhsa_exception_int_div_zero 0
	.end_amdhsa_kernel
	.section	.text._ZN9rocsolver6v33100L14bdsqr_finalizeI19rocblas_complex_numIfEfPS3_S4_S4_EEviiiiPT0_lS6_lT1_iilT2_iilT3_iilPiSA_SA_,"axG",@progbits,_ZN9rocsolver6v33100L14bdsqr_finalizeI19rocblas_complex_numIfEfPS3_S4_S4_EEviiiiPT0_lS6_lT1_iilT2_iilT3_iilPiSA_SA_,comdat
.Lfunc_end35:
	.size	_ZN9rocsolver6v33100L14bdsqr_finalizeI19rocblas_complex_numIfEfPS3_S4_S4_EEviiiiPT0_lS6_lT1_iilT2_iilT3_iilPiSA_SA_, .Lfunc_end35-_ZN9rocsolver6v33100L14bdsqr_finalizeI19rocblas_complex_numIfEfPS3_S4_S4_EEviiiiPT0_lS6_lT1_iilT2_iilT3_iilPiSA_SA_
                                        ; -- End function
	.set _ZN9rocsolver6v33100L14bdsqr_finalizeI19rocblas_complex_numIfEfPS3_S4_S4_EEviiiiPT0_lS6_lT1_iilT2_iilT3_iilPiSA_SA_.num_vgpr, max(44, .L__assert_fail.num_vgpr)
	.set _ZN9rocsolver6v33100L14bdsqr_finalizeI19rocblas_complex_numIfEfPS3_S4_S4_EEviiiiPT0_lS6_lT1_iilT2_iilT3_iilPiSA_SA_.num_agpr, max(0, .L__assert_fail.num_agpr)
	.set _ZN9rocsolver6v33100L14bdsqr_finalizeI19rocblas_complex_numIfEfPS3_S4_S4_EEviiiiPT0_lS6_lT1_iilT2_iilT3_iilPiSA_SA_.numbered_sgpr, max(64, .L__assert_fail.numbered_sgpr)
	.set _ZN9rocsolver6v33100L14bdsqr_finalizeI19rocblas_complex_numIfEfPS3_S4_S4_EEviiiiPT0_lS6_lT1_iilT2_iilT3_iilPiSA_SA_.num_named_barrier, max(0, .L__assert_fail.num_named_barrier)
	.set _ZN9rocsolver6v33100L14bdsqr_finalizeI19rocblas_complex_numIfEfPS3_S4_S4_EEviiiiPT0_lS6_lT1_iilT2_iilT3_iilPiSA_SA_.private_seg_size, 0+max(.L__assert_fail.private_seg_size)
	.set _ZN9rocsolver6v33100L14bdsqr_finalizeI19rocblas_complex_numIfEfPS3_S4_S4_EEviiiiPT0_lS6_lT1_iilT2_iilT3_iilPiSA_SA_.uses_vcc, or(1, .L__assert_fail.uses_vcc)
	.set _ZN9rocsolver6v33100L14bdsqr_finalizeI19rocblas_complex_numIfEfPS3_S4_S4_EEviiiiPT0_lS6_lT1_iilT2_iilT3_iilPiSA_SA_.uses_flat_scratch, or(1, .L__assert_fail.uses_flat_scratch)
	.set _ZN9rocsolver6v33100L14bdsqr_finalizeI19rocblas_complex_numIfEfPS3_S4_S4_EEviiiiPT0_lS6_lT1_iilT2_iilT3_iilPiSA_SA_.has_dyn_sized_stack, or(0, .L__assert_fail.has_dyn_sized_stack)
	.set _ZN9rocsolver6v33100L14bdsqr_finalizeI19rocblas_complex_numIfEfPS3_S4_S4_EEviiiiPT0_lS6_lT1_iilT2_iilT3_iilPiSA_SA_.has_recursion, or(0, .L__assert_fail.has_recursion)
	.set _ZN9rocsolver6v33100L14bdsqr_finalizeI19rocblas_complex_numIfEfPS3_S4_S4_EEviiiiPT0_lS6_lT1_iilT2_iilT3_iilPiSA_SA_.has_indirect_call, or(0, .L__assert_fail.has_indirect_call)
	.section	.AMDGPU.csdata,"",@progbits
; Kernel info:
; codeLenInByte = 9084
; TotalNumSgprs: 66
; NumVgprs: 44
; ScratchSize: 64
; MemoryBound: 0
; FloatMode: 240
; IeeeMode: 1
; LDSByteSize: 0 bytes/workgroup (compile time only)
; SGPRBlocks: 0
; VGPRBlocks: 5
; NumSGPRsForWavesPerEU: 66
; NumVGPRsForWavesPerEU: 44
; Occupancy: 16
; WaveLimiterHint : 1
; COMPUTE_PGM_RSRC2:SCRATCH_EN: 1
; COMPUTE_PGM_RSRC2:USER_SGPR: 8
; COMPUTE_PGM_RSRC2:TRAP_HANDLER: 0
; COMPUTE_PGM_RSRC2:TGID_X_EN: 1
; COMPUTE_PGM_RSRC2:TGID_Y_EN: 1
; COMPUTE_PGM_RSRC2:TGID_Z_EN: 0
; COMPUTE_PGM_RSRC2:TIDIG_COMP_CNT: 2
	.section	.text._ZN9rocsolver6v33100L10bdsqr_initI19rocblas_complex_numIdEdEEviPT0_lS5_lPiiS4_S4_S6_S5_lS6_,"axG",@progbits,_ZN9rocsolver6v33100L10bdsqr_initI19rocblas_complex_numIdEdEEviPT0_lS5_lPiiS4_S4_S6_S5_lS6_,comdat
	.globl	_ZN9rocsolver6v33100L10bdsqr_initI19rocblas_complex_numIdEdEEviPT0_lS5_lPiiS4_S4_S6_S5_lS6_ ; -- Begin function _ZN9rocsolver6v33100L10bdsqr_initI19rocblas_complex_numIdEdEEviPT0_lS5_lPiiS4_S4_S6_S5_lS6_
	.p2align	8
	.type	_ZN9rocsolver6v33100L10bdsqr_initI19rocblas_complex_numIdEdEEviPT0_lS5_lPiiS4_S4_S6_S5_lS6_,@function
_ZN9rocsolver6v33100L10bdsqr_initI19rocblas_complex_numIdEdEEviPT0_lS5_lPiiS4_S4_S6_S5_lS6_: ; @_ZN9rocsolver6v33100L10bdsqr_initI19rocblas_complex_numIdEdEEviPT0_lS5_lPiiS4_S4_S6_S5_lS6_
; %bb.0:
	s_clause 0x1
	s_load_dword s6, s[4:5], 0x0
	s_load_dwordx8 s[8:15], s[4:5], 0x8
	s_mov_b32 s16, s7
	s_ashr_i32 s17, s7, 31
	s_load_dwordx2 s[22:23], s[4:5], 0x28
	s_waitcnt lgkmcnt(0)
	s_ashr_i32 s7, s6, 31
	s_mul_hi_u32 s1, s10, s16
	s_mul_i32 s2, s10, s17
	s_mul_i32 s3, s11, s16
	s_add_i32 s1, s1, s2
	s_mul_i32 s0, s10, s16
	s_add_i32 s1, s1, s3
	s_mul_hi_u32 s2, s14, s16
	s_lshl_b64 s[0:1], s[0:1], 3
	s_mul_i32 s3, s14, s17
	s_add_u32 s20, s8, s0
	s_mul_i32 s10, s15, s16
	s_addc_u32 s21, s9, s1
	s_add_i32 s1, s2, s3
	s_mul_i32 s0, s14, s16
	s_add_i32 s1, s1, s10
	v_cmp_lt_i64_e64 s3, s[6:7], 2
	s_lshl_b64 s[0:1], s[0:1], 3
	v_cmp_gt_i64_e64 s30, s[6:7], 1
	s_add_u32 s24, s12, s0
	s_addc_u32 s25, s13, s1
	s_lshl_b64 s[0:1], s[6:7], 3
	s_add_u32 s18, s20, s0
	s_addc_u32 s19, s21, s1
	s_add_u32 s0, s18, -8
	s_addc_u32 s1, s19, -1
	s_clause 0x1
	s_load_dwordx2 s[8:9], s[20:21], 0x0
	s_load_dwordx2 s[0:1], s[0:1], 0x0
	s_waitcnt lgkmcnt(0)
	v_cmp_ge_f64_e64 s2, s[8:9], s[0:1]
	s_and_b32 s7, s2, exec_lo
	s_cselect_b32 s1, s9, s1
	s_cselect_b32 s0, s8, s0
	s_bitset0_b32 s1, 31
	v_mov_b32_e32 v0, s0
	v_mov_b32_e32 v1, s1
	s_and_b32 vcc_lo, exec_lo, s3
	s_cbranch_vccnz .LBB36_3
; %bb.1:
	v_mov_b32_e32 v0, s0
	v_mov_b32_e32 v3, s1
	;; [unrolled: 1-line block ×4, first 2 shown]
	s_add_i32 s0, s6, -2
	s_mov_b32 s1, 1
.LBB36_2:                               ; =>This Inner Loop Header: Depth=1
	s_and_b32 s3, s2, exec_lo
	s_cselect_b32 s8, s1, s0
	s_add_i32 s3, s1, -1
	s_and_b32 s7, s2, exec_lo
	s_cselect_b32 s10, s3, s0
	s_ashr_i32 s11, s10, 31
	s_lshl_b64 s[10:11], s[10:11], 3
	s_add_u32 s10, s24, s10
	s_addc_u32 s11, s25, s11
	s_ashr_i32 s9, s8, 31
	s_load_dwordx2 s[10:11], s[10:11], 0x0
	s_lshl_b64 s[8:9], s[8:9], 3
	s_add_u32 s8, s20, s8
	s_addc_u32 s9, s21, s9
	s_add_i32 s1, s1, 1
	s_load_dwordx2 s[8:9], s[8:9], 0x0
	s_add_i32 s0, s0, -1
	s_cmp_lg_u32 s1, s6
	s_waitcnt lgkmcnt(0)
	v_add_f64 v[4:5], v[2:3], |s[10:11]|
	v_div_scale_f64 v[6:7], null, v[4:5], v[4:5], v[2:3]
	v_div_scale_f64 v[12:13], vcc_lo, v[2:3], v[4:5], v[2:3]
	v_rcp_f64_e32 v[8:9], v[6:7]
	v_fma_f64 v[10:11], -v[6:7], v[8:9], 1.0
	v_fma_f64 v[8:9], v[8:9], v[10:11], v[8:9]
	v_fma_f64 v[10:11], -v[6:7], v[8:9], 1.0
	v_fma_f64 v[8:9], v[8:9], v[10:11], v[8:9]
	v_mul_f64 v[10:11], v[12:13], v[8:9]
	v_fma_f64 v[6:7], -v[6:7], v[10:11], v[12:13]
	v_div_fmas_f64 v[6:7], v[6:7], v[8:9], v[10:11]
	v_div_fixup_f64 v[2:3], v[6:7], v[4:5], v[2:3]
	v_mul_f64 v[2:3], |s[8:9]|, v[2:3]
	v_cmp_lt_f64_e32 vcc_lo, v[2:3], v[0:1]
	v_cndmask_b32_e32 v1, v1, v3, vcc_lo
	v_cndmask_b32_e32 v0, v0, v2, vcc_lo
	s_cbranch_scc1 .LBB36_2
.LBB36_3:
	v_cvt_f64_i32_e32 v[2:3], s6
	s_clause 0x1
	s_load_dwordx8 s[8:15], s[4:5], 0x38
	s_load_dwordx4 s[0:3], s[4:5], 0x58
	s_lshl_b32 s29, s6, 1
	s_load_dword s4, s[4:5], 0x30
	s_mul_i32 s26, s29, s16
	s_ashr_i32 s27, s26, 31
	s_lshl_b64 s[26:27], s[26:27], 2
	s_waitcnt lgkmcnt(0)
	s_add_u32 s7, s12, s26
	s_mul_i32 s31, s0, s17
	v_cmp_gt_f64_e32 vcc_lo, 0x10000000, v[2:3]
	s_mul_hi_u32 s33, s0, s16
	s_mul_i32 s1, s1, s16
	s_addc_u32 s28, s13, s27
	s_add_i32 s31, s33, s31
	s_mul_i32 s0, s0, s16
	s_add_i32 s1, s31, s1
	s_mov_b32 s31, 1
	s_lshl_b64 s[0:1], s[0:1], 3
	s_mov_b32 s33, 3
	s_add_u32 s0, s14, s0
	s_addc_u32 s1, s15, s1
	s_mov_b32 s15, 0
	s_and_b32 s14, vcc_lo, exec_lo
	s_cselect_b32 s14, 0x100, 0
	v_ldexp_f64 v[2:3], v[2:3], s14
	s_cselect_b32 s14, 0xffffff80, 0
	v_rsq_f64_e32 v[4:5], v[2:3]
	v_cmp_class_f64_e64 vcc_lo, v[2:3], 0x260
	v_mul_f64 v[6:7], v[2:3], v[4:5]
	v_mul_f64 v[4:5], v[4:5], 0.5
	v_fma_f64 v[8:9], -v[4:5], v[6:7], 0.5
	v_fma_f64 v[6:7], v[6:7], v[8:9], v[6:7]
	v_fma_f64 v[4:5], v[4:5], v[8:9], v[4:5]
	v_fma_f64 v[8:9], -v[6:7], v[6:7], v[2:3]
	v_fma_f64 v[6:7], v[8:9], v[4:5], v[6:7]
	v_fma_f64 v[8:9], -v[6:7], v[6:7], v[2:3]
	v_fma_f64 v[4:5], v[8:9], v[4:5], v[6:7]
	v_mul_f64 v[6:7], s[10:11], v[0:1]
	v_ldexp_f64 v[4:5], v[4:5], s14
	s_mov_b32 s14, 0
	v_cndmask_b32_e32 v3, v5, v3, vcc_lo
	v_cndmask_b32_e32 v2, v4, v2, vcc_lo
	v_div_scale_f64 v[4:5], null, v[2:3], v[2:3], v[6:7]
	v_div_scale_f64 v[12:13], vcc_lo, v[6:7], v[2:3], v[6:7]
	v_rcp_f64_e32 v[8:9], v[4:5]
	v_fma_f64 v[10:11], -v[4:5], v[8:9], 1.0
	v_fma_f64 v[8:9], v[8:9], v[10:11], v[8:9]
	v_fma_f64 v[10:11], -v[4:5], v[8:9], 1.0
	v_fma_f64 v[8:9], v[8:9], v[10:11], v[8:9]
	v_mul_f64 v[10:11], v[12:13], v[8:9]
	v_fma_f64 v[4:5], -v[4:5], v[10:11], v[12:13]
	v_div_fmas_f64 v[4:5], v[4:5], v[8:9], v[10:11]
	v_cvt_f64_i32_e32 v[8:9], s4
	v_div_fixup_f64 v[2:3], v[4:5], v[2:3], v[6:7]
	v_mul_f64 v[5:6], s[8:9], v[8:9]
	v_cndmask_b32_e64 v8, 0, 1, s30
	v_mov_b32_e32 v4, 0
	v_cmp_lt_f64_e32 vcc_lo, v[2:3], v[5:6]
	v_cndmask_b32_e32 v3, v3, v6, vcc_lo
	v_cndmask_b32_e32 v2, v2, v5, vcc_lo
	s_andn2_b32 vcc_lo, exec_lo, s30
	s_mov_b32 s30, 0
	global_store_dwordx4 v4, v[0:3], s[0:1]
	s_cbranch_vccnz .LBB36_15
; %bb.4:
	s_add_u32 s4, s12, s26
	s_addc_u32 s5, s13, s27
	s_add_u32 s4, s4, 8
	s_addc_u32 s5, s5, 0
	s_mov_b32 s12, 0
	s_mov_b64 s[8:9], s[24:25]
	s_mov_b64 s[10:11], s[20:21]
	s_branch .LBB36_7
.LBB36_5:                               ;   in Loop: Header=BB36_7 Depth=1
	s_mov_b32 s12, s13
.LBB36_6:                               ;   in Loop: Header=BB36_7 Depth=1
	v_and_b32_e32 v1, 0x7fffffff, v1
	s_waitcnt vmcnt(0)
	v_cmp_nlg_f64_e64 s13, 0x7ff00000, |v[6:7]|
	s_add_i32 s31, s31, 1
	v_cmp_nlg_f64_e32 vcc_lo, 0x7ff00000, v[0:1]
	s_or_b32 s13, s13, vcc_lo
	s_or_b32 s15, s13, s15
	s_add_u32 s4, s4, 16
	s_addc_u32 s5, s5, 0
	s_add_u32 s10, s10, 8
	s_addc_u32 s11, s11, 0
	s_add_i32 s33, s33, 4
	s_add_u32 s8, s8, 8
	s_addc_u32 s9, s9, 0
	s_cmp_eq_u32 s6, s31
	s_cbranch_scc1 .LBB36_15
.LBB36_7:                               ; =>This Inner Loop Header: Depth=1
	s_cmp_ge_i32 s33, s29
	s_cbranch_scc1 .LBB36_9
; %bb.8:                                ;   in Loop: Header=BB36_7 Depth=1
	v_mov_b32_e32 v5, v4
	v_mov_b32_e32 v6, v4
	;; [unrolled: 1-line block ×3, first 2 shown]
	global_store_dwordx4 v4, v[4:7], s[4:5] offset:-8
	s_waitcnt_vscnt null, 0x0
	buffer_gl1_inv
	buffer_gl0_inv
.LBB36_9:                               ;   in Loop: Header=BB36_7 Depth=1
	s_clause 0x1
	global_load_dwordx2 v[0:1], v4, s[8:9]
	global_load_dwordx2 v[6:7], v4, s[10:11]
	s_mov_b32 s26, -1
	s_waitcnt vmcnt(1)
	v_cmp_lt_f64_e64 s13, |v[0:1]|, v[2:3]
	s_and_b32 vcc_lo, exec_lo, s13
                                        ; implicit-def: $sgpr13
	s_cbranch_vccnz .LBB36_11
; %bb.10:                               ;   in Loop: Header=BB36_7 Depth=1
	s_add_i32 s13, s12, 1
	s_mov_b32 s26, 0
.LBB36_11:                              ;   in Loop: Header=BB36_7 Depth=1
	s_andn2_b32 vcc_lo, exec_lo, s26
	s_cbranch_vccnz .LBB36_5
; %bb.12:                               ;   in Loop: Header=BB36_7 Depth=1
	v_mov_b32_e32 v5, v4
	s_add_i32 s13, s31, -1
	s_cmp_ge_i32 s30, s13
	global_store_dwordx2 v4, v[4:5], s[8:9]
	s_cbranch_scc1 .LBB36_14
; %bb.13:                               ;   in Loop: Header=BB36_7 Depth=1
	s_lshl_b32 s26, s14, 2
	v_mov_b32_e32 v9, s30
	s_ashr_i32 s27, s26, 31
	v_mov_b32_e32 v10, s13
	s_lshl_b64 s[26:27], s[26:27], 2
	s_add_i32 s14, s14, 1
	s_add_u32 s26, s7, s26
	s_addc_u32 s27, s28, s27
	global_store_dwordx2 v4, v[9:10], s[26:27] offset:4
.LBB36_14:                              ;   in Loop: Header=BB36_7 Depth=1
	s_add_i32 s12, s12, 1
	s_mov_b32 s30, s31
	s_branch .LBB36_6
.LBB36_15:
	v_mov_b32_e32 v2, 0
	s_add_i32 s4, s6, -1
	s_mov_b32 s5, -1
	s_cmp_lt_i32 s30, s4
	global_load_dwordx2 v[0:1], v2, s[18:19] offset:-8
	s_cbranch_scc0 .LBB36_17
; %bb.16:
	s_lshl_b32 s8, s14, 2
	v_mov_b32_e32 v3, s30
	s_ashr_i32 s9, s8, 31
	v_mov_b32_e32 v4, s4
	s_lshl_b64 s[8:9], s[8:9], 2
	s_add_u32 s8, s7, s8
	s_addc_u32 s9, s28, s9
	global_store_dwordx2 v2, v[3:4], s[8:9] offset:4
.LBB36_17:
	s_waitcnt vmcnt(0)
	v_cmp_nlg_f64_e64 s7, 0x7ff00000, |v[0:1]|
	s_or_b32 s7, s7, s15
	s_andn2_b32 vcc_lo, exec_lo, s7
	s_cbranch_vccz .LBB36_22
; %bb.18:
	s_add_i32 s7, s14, 1
	v_mov_b32_e32 v2, 0
	v_cvt_f64_i32_e32 v[0:1], s7
	s_lshl_b64 s[8:9], s[16:17], 2
	s_mov_b32 s5, 0
	s_add_u32 s8, s22, s8
	v_mov_b32_e32 v3, v2
	s_addc_u32 s9, s23, s9
	s_cmp_lt_i32 s14, 0
	global_store_dwordx4 v2, v[0:3], s[0:1] offset:16
	global_store_dword v2, v2, s[8:9]
	s_cbranch_scc1 .LBB36_22
; %bb.19:
	v_mov_b32_e32 v1, 0
	s_mov_b32 s0, 0
.LBB36_20:                              ; =>This Inner Loop Header: Depth=1
	v_mov_b32_e32 v0, s7
	global_atomic_cmpswap v1, v2, v[0:1], s[2:3] offset:4 glc
	s_waitcnt vmcnt(0)
	v_cmp_lt_i32_e32 vcc_lo, s14, v1
	s_or_b32 s0, vcc_lo, s0
	s_andn2_b32 exec_lo, exec_lo, s0
	s_cbranch_execnz .LBB36_20
; %bb.21:
	s_or_b32 exec_lo, exec_lo, s0
.LBB36_22:
	s_andn2_b32 vcc_lo, exec_lo, s5
	s_cbranch_vccnz .LBB36_28
; %bb.23:
	v_cmp_ne_u32_e32 vcc_lo, 1, v8
	s_cbranch_vccnz .LBB36_26
; %bb.24:
	s_mov_b32 s0, 0
	s_mov_b32 s1, 0x7ff80000
	v_mov_b32_e32 v0, s0
	v_mov_b32_e32 v2, 0
	;; [unrolled: 1-line block ×3, first 2 shown]
.LBB36_25:                              ; =>This Inner Loop Header: Depth=1
	s_add_i32 s4, s4, -1
	global_store_dwordx2 v2, v[0:1], s[20:21]
	global_store_dwordx2 v2, v[0:1], s[24:25]
	s_add_u32 s20, s20, 8
	s_addc_u32 s21, s21, 0
	s_add_u32 s24, s24, 8
	s_addc_u32 s25, s25, 0
	s_cmp_eq_u32 s4, 0
	s_cbranch_scc0 .LBB36_25
.LBB36_26:
	v_mov_b32_e32 v0, 0
	v_mov_b32_e32 v1, 0x7ff80000
	s_mov_b32 s0, exec_lo
	s_lshl_b64 s[4:5], s[16:17], 2
	v_mbcnt_lo_u32_b32 v2, s0, 0
	s_add_u32 s8, s22, s4
	global_store_dwordx2 v0, v[0:1], s[18:19] offset:-8
	v_mov_b32_e32 v1, s6
	v_mov_b32_e32 v3, 2
	s_addc_u32 s9, s23, s5
	s_add_u32 s4, s2, s4
	s_addc_u32 s5, s3, s5
	global_store_dword v0, v1, s[8:9]
	global_store_dword v0, v3, s[4:5] offset:8
	s_mov_b32 s1, exec_lo
	v_cmpx_eq_u32_e32 0, v2
	s_cbranch_execz .LBB36_28
; %bb.27:
	s_bcnt1_i32_b32 s0, s0
	v_mov_b32_e32 v1, s0
	global_atomic_add v0, v1, s[2:3]
.LBB36_28:
	s_endpgm
	.section	.rodata,"a",@progbits
	.p2align	6, 0x0
	.amdhsa_kernel _ZN9rocsolver6v33100L10bdsqr_initI19rocblas_complex_numIdEdEEviPT0_lS5_lPiiS4_S4_S6_S5_lS6_
		.amdhsa_group_segment_fixed_size 0
		.amdhsa_private_segment_fixed_size 0
		.amdhsa_kernarg_size 104
		.amdhsa_user_sgpr_count 6
		.amdhsa_user_sgpr_private_segment_buffer 1
		.amdhsa_user_sgpr_dispatch_ptr 0
		.amdhsa_user_sgpr_queue_ptr 0
		.amdhsa_user_sgpr_kernarg_segment_ptr 1
		.amdhsa_user_sgpr_dispatch_id 0
		.amdhsa_user_sgpr_flat_scratch_init 0
		.amdhsa_user_sgpr_private_segment_size 0
		.amdhsa_wavefront_size32 1
		.amdhsa_uses_dynamic_stack 0
		.amdhsa_system_sgpr_private_segment_wavefront_offset 0
		.amdhsa_system_sgpr_workgroup_id_x 1
		.amdhsa_system_sgpr_workgroup_id_y 1
		.amdhsa_system_sgpr_workgroup_id_z 0
		.amdhsa_system_sgpr_workgroup_info 0
		.amdhsa_system_vgpr_workitem_id 0
		.amdhsa_next_free_vgpr 14
		.amdhsa_next_free_sgpr 34
		.amdhsa_reserve_vcc 1
		.amdhsa_reserve_flat_scratch 0
		.amdhsa_float_round_mode_32 0
		.amdhsa_float_round_mode_16_64 0
		.amdhsa_float_denorm_mode_32 3
		.amdhsa_float_denorm_mode_16_64 3
		.amdhsa_dx10_clamp 1
		.amdhsa_ieee_mode 1
		.amdhsa_fp16_overflow 0
		.amdhsa_workgroup_processor_mode 1
		.amdhsa_memory_ordered 1
		.amdhsa_forward_progress 1
		.amdhsa_shared_vgpr_count 0
		.amdhsa_exception_fp_ieee_invalid_op 0
		.amdhsa_exception_fp_denorm_src 0
		.amdhsa_exception_fp_ieee_div_zero 0
		.amdhsa_exception_fp_ieee_overflow 0
		.amdhsa_exception_fp_ieee_underflow 0
		.amdhsa_exception_fp_ieee_inexact 0
		.amdhsa_exception_int_div_zero 0
	.end_amdhsa_kernel
	.section	.text._ZN9rocsolver6v33100L10bdsqr_initI19rocblas_complex_numIdEdEEviPT0_lS5_lPiiS4_S4_S6_S5_lS6_,"axG",@progbits,_ZN9rocsolver6v33100L10bdsqr_initI19rocblas_complex_numIdEdEEviPT0_lS5_lPiiS4_S4_S6_S5_lS6_,comdat
.Lfunc_end36:
	.size	_ZN9rocsolver6v33100L10bdsqr_initI19rocblas_complex_numIdEdEEviPT0_lS5_lPiiS4_S4_S6_S5_lS6_, .Lfunc_end36-_ZN9rocsolver6v33100L10bdsqr_initI19rocblas_complex_numIdEdEEviPT0_lS5_lPiiS4_S4_S6_S5_lS6_
                                        ; -- End function
	.set _ZN9rocsolver6v33100L10bdsqr_initI19rocblas_complex_numIdEdEEviPT0_lS5_lPiiS4_S4_S6_S5_lS6_.num_vgpr, 14
	.set _ZN9rocsolver6v33100L10bdsqr_initI19rocblas_complex_numIdEdEEviPT0_lS5_lPiiS4_S4_S6_S5_lS6_.num_agpr, 0
	.set _ZN9rocsolver6v33100L10bdsqr_initI19rocblas_complex_numIdEdEEviPT0_lS5_lPiiS4_S4_S6_S5_lS6_.numbered_sgpr, 34
	.set _ZN9rocsolver6v33100L10bdsqr_initI19rocblas_complex_numIdEdEEviPT0_lS5_lPiiS4_S4_S6_S5_lS6_.num_named_barrier, 0
	.set _ZN9rocsolver6v33100L10bdsqr_initI19rocblas_complex_numIdEdEEviPT0_lS5_lPiiS4_S4_S6_S5_lS6_.private_seg_size, 0
	.set _ZN9rocsolver6v33100L10bdsqr_initI19rocblas_complex_numIdEdEEviPT0_lS5_lPiiS4_S4_S6_S5_lS6_.uses_vcc, 1
	.set _ZN9rocsolver6v33100L10bdsqr_initI19rocblas_complex_numIdEdEEviPT0_lS5_lPiiS4_S4_S6_S5_lS6_.uses_flat_scratch, 0
	.set _ZN9rocsolver6v33100L10bdsqr_initI19rocblas_complex_numIdEdEEviPT0_lS5_lPiiS4_S4_S6_S5_lS6_.has_dyn_sized_stack, 0
	.set _ZN9rocsolver6v33100L10bdsqr_initI19rocblas_complex_numIdEdEEviPT0_lS5_lPiiS4_S4_S6_S5_lS6_.has_recursion, 0
	.set _ZN9rocsolver6v33100L10bdsqr_initI19rocblas_complex_numIdEdEEviPT0_lS5_lPiiS4_S4_S6_S5_lS6_.has_indirect_call, 0
	.section	.AMDGPU.csdata,"",@progbits
; Kernel info:
; codeLenInByte = 1524
; TotalNumSgprs: 36
; NumVgprs: 14
; ScratchSize: 0
; MemoryBound: 0
; FloatMode: 240
; IeeeMode: 1
; LDSByteSize: 0 bytes/workgroup (compile time only)
; SGPRBlocks: 0
; VGPRBlocks: 1
; NumSGPRsForWavesPerEU: 36
; NumVGPRsForWavesPerEU: 14
; Occupancy: 16
; WaveLimiterHint : 0
; COMPUTE_PGM_RSRC2:SCRATCH_EN: 0
; COMPUTE_PGM_RSRC2:USER_SGPR: 6
; COMPUTE_PGM_RSRC2:TRAP_HANDLER: 0
; COMPUTE_PGM_RSRC2:TGID_X_EN: 1
; COMPUTE_PGM_RSRC2:TGID_Y_EN: 1
; COMPUTE_PGM_RSRC2:TGID_Z_EN: 0
; COMPUTE_PGM_RSRC2:TIDIG_COMP_CNT: 0
	.section	.text._ZN9rocsolver6v33100L11swap_kernelI19rocblas_complex_numIdEiEEvT0_PT_S4_S6_S4_,"axG",@progbits,_ZN9rocsolver6v33100L11swap_kernelI19rocblas_complex_numIdEiEEvT0_PT_S4_S6_S4_,comdat
	.globl	_ZN9rocsolver6v33100L11swap_kernelI19rocblas_complex_numIdEiEEvT0_PT_S4_S6_S4_ ; -- Begin function _ZN9rocsolver6v33100L11swap_kernelI19rocblas_complex_numIdEiEEvT0_PT_S4_S6_S4_
	.p2align	8
	.type	_ZN9rocsolver6v33100L11swap_kernelI19rocblas_complex_numIdEiEEvT0_PT_S4_S6_S4_,@function
_ZN9rocsolver6v33100L11swap_kernelI19rocblas_complex_numIdEiEEvT0_PT_S4_S6_S4_: ; @_ZN9rocsolver6v33100L11swap_kernelI19rocblas_complex_numIdEiEEvT0_PT_S4_S6_S4_
; %bb.0:
	s_load_dword s12, s[6:7], 0x0
	s_waitcnt lgkmcnt(0)
	s_cmp_lt_i32 s12, 1
	s_cbranch_scc1 .LBB37_10
; %bb.1:
	s_load_dwordx2 s[10:11], s[4:5], 0x4
	s_clause 0x5
	s_load_dword s0, s[6:7], 0x34
	s_load_dword s1, s[6:7], 0x10
	s_load_dword s9, s[6:7], 0x20
	s_load_dword s13, s[6:7], 0x28
	s_load_dwordx2 s[2:3], s[6:7], 0x8
	s_load_dwordx2 s[4:5], s[6:7], 0x18
	s_waitcnt lgkmcnt(0)
	s_lshr_b32 s6, s10, 16
	s_and_b32 s0, s0, 0xffff
	s_mul_i32 s6, s6, s11
	v_mad_u64_u32 v[3:4], null, s8, s0, v[0:1]
	v_mul_lo_u32 v0, s6, v0
	s_cmp_eq_u32 s1, 1
	v_mul_u32_u24_e32 v1, s11, v1
	s_cselect_b32 s7, -1, 0
	s_cmp_eq_u32 s9, 1
	s_mul_i32 s6, s13, s0
	s_cselect_b32 s8, -1, 0
	v_cmp_gt_i32_e64 s0, s12, v3
	v_add3_u32 v2, v0, v1, v2
	s_and_b32 s7, s7, s8
	s_and_b32 vcc_lo, exec_lo, s7
	s_mov_b32 s7, -1
	s_cbranch_vccnz .LBB37_6
; %bb.2:
	s_and_saveexec_b32 s7, s0
	s_cbranch_execz .LBB37_5
; %bb.3:
	v_mad_i64_i32 v[0:1], null, s9, v3, 0
	v_mad_i64_i32 v[4:5], null, s1, v3, 0
	v_lshlrev_b32_e32 v6, 4, v2
	v_mov_b32_e32 v7, v3
	s_mul_hi_i32 s11, s9, s6
	s_mul_i32 s10, s9, s6
	v_lshlrev_b64 v[0:1], 4, v[0:1]
	s_mul_hi_i32 s15, s1, s6
	v_lshlrev_b64 v[4:5], 4, v[4:5]
	s_mul_i32 s14, s1, s6
	s_lshl_b64 s[8:9], s[10:11], 4
	s_lshl_b64 s[10:11], s[14:15], 4
	v_add_co_u32 v0, vcc_lo, s4, v0
	v_add_co_ci_u32_e64 v1, null, s5, v1, vcc_lo
	v_add_co_u32 v4, vcc_lo, s2, v4
	v_add_co_ci_u32_e64 v5, null, s3, v5, vcc_lo
	s_mov_b32 s13, 0
	.p2align	6
.LBB37_4:                               ; =>This Inner Loop Header: Depth=1
	global_load_dwordx4 v[8:11], v[4:5], off
	global_load_dwordx4 v[12:15], v[0:1], off
	v_add_nc_u32_e32 v7, s6, v7
	s_waitcnt vmcnt(1)
	global_store_dwordx4 v[0:1], v[8:11], off
	s_waitcnt vmcnt(0)
	global_store_dwordx4 v[4:5], v[12:15], off
	v_add_co_u32 v0, s1, v0, s8
	v_cmp_le_i32_e32 vcc_lo, s12, v7
	v_add_co_ci_u32_e64 v1, null, s9, v1, s1
	v_add_co_u32 v4, s1, v4, s10
	v_add_co_ci_u32_e64 v5, null, s11, v5, s1
	s_or_b32 s13, vcc_lo, s13
	ds_write2_b64 v6, v[12:13], v[14:15] offset1:1
	s_andn2_b32 exec_lo, exec_lo, s13
	s_cbranch_execnz .LBB37_4
.LBB37_5:
	s_or_b32 exec_lo, exec_lo, s7
	s_mov_b32 s7, 0
.LBB37_6:
	s_andn2_b32 vcc_lo, exec_lo, s7
	s_cbranch_vccnz .LBB37_10
; %bb.7:
	s_and_saveexec_b32 s1, s0
	s_cbranch_execz .LBB37_10
; %bb.8:
	v_ashrrev_i32_e32 v4, 31, v3
	v_lshl_add_u32 v2, v2, 4, 0x4000
	s_ashr_i32 s7, s6, 31
	s_mov_b32 s1, 0
	s_lshl_b64 s[8:9], s[6:7], 4
	v_lshlrev_b64 v[0:1], 4, v[3:4]
	.p2align	6
.LBB37_9:                               ; =>This Inner Loop Header: Depth=1
	v_add_co_u32 v12, vcc_lo, s4, v0
	v_add_co_ci_u32_e64 v13, null, s5, v1, vcc_lo
	v_add_co_u32 v14, vcc_lo, s2, v0
	v_add_co_ci_u32_e64 v15, null, s3, v1, vcc_lo
	global_load_dwordx4 v[4:7], v[12:13], off
	global_load_dwordx4 v[8:11], v[14:15], off
	v_add_nc_u32_e32 v3, s6, v3
	v_add_co_u32 v0, s0, v0, s8
	v_add_co_ci_u32_e64 v1, null, s9, v1, s0
	v_cmp_le_i32_e32 vcc_lo, s12, v3
	s_or_b32 s1, vcc_lo, s1
	s_waitcnt vmcnt(1)
	ds_write2_b64 v2, v[4:5], v[6:7] offset1:1
	s_waitcnt vmcnt(0)
	global_store_dwordx4 v[12:13], v[8:11], off
	global_store_dwordx4 v[14:15], v[4:7], off
	s_andn2_b32 exec_lo, exec_lo, s1
	s_cbranch_execnz .LBB37_9
.LBB37_10:
	s_endpgm
	.section	.rodata,"a",@progbits
	.p2align	6, 0x0
	.amdhsa_kernel _ZN9rocsolver6v33100L11swap_kernelI19rocblas_complex_numIdEiEEvT0_PT_S4_S6_S4_
		.amdhsa_group_segment_fixed_size 32768
		.amdhsa_private_segment_fixed_size 0
		.amdhsa_kernarg_size 296
		.amdhsa_user_sgpr_count 8
		.amdhsa_user_sgpr_private_segment_buffer 1
		.amdhsa_user_sgpr_dispatch_ptr 1
		.amdhsa_user_sgpr_queue_ptr 0
		.amdhsa_user_sgpr_kernarg_segment_ptr 1
		.amdhsa_user_sgpr_dispatch_id 0
		.amdhsa_user_sgpr_flat_scratch_init 0
		.amdhsa_user_sgpr_private_segment_size 0
		.amdhsa_wavefront_size32 1
		.amdhsa_uses_dynamic_stack 0
		.amdhsa_system_sgpr_private_segment_wavefront_offset 0
		.amdhsa_system_sgpr_workgroup_id_x 1
		.amdhsa_system_sgpr_workgroup_id_y 0
		.amdhsa_system_sgpr_workgroup_id_z 0
		.amdhsa_system_sgpr_workgroup_info 0
		.amdhsa_system_vgpr_workitem_id 2
		.amdhsa_next_free_vgpr 16
		.amdhsa_next_free_sgpr 16
		.amdhsa_reserve_vcc 1
		.amdhsa_reserve_flat_scratch 0
		.amdhsa_float_round_mode_32 0
		.amdhsa_float_round_mode_16_64 0
		.amdhsa_float_denorm_mode_32 3
		.amdhsa_float_denorm_mode_16_64 3
		.amdhsa_dx10_clamp 1
		.amdhsa_ieee_mode 1
		.amdhsa_fp16_overflow 0
		.amdhsa_workgroup_processor_mode 1
		.amdhsa_memory_ordered 1
		.amdhsa_forward_progress 1
		.amdhsa_shared_vgpr_count 0
		.amdhsa_exception_fp_ieee_invalid_op 0
		.amdhsa_exception_fp_denorm_src 0
		.amdhsa_exception_fp_ieee_div_zero 0
		.amdhsa_exception_fp_ieee_overflow 0
		.amdhsa_exception_fp_ieee_underflow 0
		.amdhsa_exception_fp_ieee_inexact 0
		.amdhsa_exception_int_div_zero 0
	.end_amdhsa_kernel
	.section	.text._ZN9rocsolver6v33100L11swap_kernelI19rocblas_complex_numIdEiEEvT0_PT_S4_S6_S4_,"axG",@progbits,_ZN9rocsolver6v33100L11swap_kernelI19rocblas_complex_numIdEiEEvT0_PT_S4_S6_S4_,comdat
.Lfunc_end37:
	.size	_ZN9rocsolver6v33100L11swap_kernelI19rocblas_complex_numIdEiEEvT0_PT_S4_S6_S4_, .Lfunc_end37-_ZN9rocsolver6v33100L11swap_kernelI19rocblas_complex_numIdEiEEvT0_PT_S4_S6_S4_
                                        ; -- End function
	.set _ZN9rocsolver6v33100L11swap_kernelI19rocblas_complex_numIdEiEEvT0_PT_S4_S6_S4_.num_vgpr, 16
	.set _ZN9rocsolver6v33100L11swap_kernelI19rocblas_complex_numIdEiEEvT0_PT_S4_S6_S4_.num_agpr, 0
	.set _ZN9rocsolver6v33100L11swap_kernelI19rocblas_complex_numIdEiEEvT0_PT_S4_S6_S4_.numbered_sgpr, 16
	.set _ZN9rocsolver6v33100L11swap_kernelI19rocblas_complex_numIdEiEEvT0_PT_S4_S6_S4_.num_named_barrier, 0
	.set _ZN9rocsolver6v33100L11swap_kernelI19rocblas_complex_numIdEiEEvT0_PT_S4_S6_S4_.private_seg_size, 0
	.set _ZN9rocsolver6v33100L11swap_kernelI19rocblas_complex_numIdEiEEvT0_PT_S4_S6_S4_.uses_vcc, 1
	.set _ZN9rocsolver6v33100L11swap_kernelI19rocblas_complex_numIdEiEEvT0_PT_S4_S6_S4_.uses_flat_scratch, 0
	.set _ZN9rocsolver6v33100L11swap_kernelI19rocblas_complex_numIdEiEEvT0_PT_S4_S6_S4_.has_dyn_sized_stack, 0
	.set _ZN9rocsolver6v33100L11swap_kernelI19rocblas_complex_numIdEiEEvT0_PT_S4_S6_S4_.has_recursion, 0
	.set _ZN9rocsolver6v33100L11swap_kernelI19rocblas_complex_numIdEiEEvT0_PT_S4_S6_S4_.has_indirect_call, 0
	.section	.AMDGPU.csdata,"",@progbits
; Kernel info:
; codeLenInByte = 632
; TotalNumSgprs: 18
; NumVgprs: 16
; ScratchSize: 0
; MemoryBound: 0
; FloatMode: 240
; IeeeMode: 1
; LDSByteSize: 32768 bytes/workgroup (compile time only)
; SGPRBlocks: 0
; VGPRBlocks: 1
; NumSGPRsForWavesPerEU: 18
; NumVGPRsForWavesPerEU: 16
; Occupancy: 16
; WaveLimiterHint : 0
; COMPUTE_PGM_RSRC2:SCRATCH_EN: 0
; COMPUTE_PGM_RSRC2:USER_SGPR: 8
; COMPUTE_PGM_RSRC2:TRAP_HANDLER: 0
; COMPUTE_PGM_RSRC2:TGID_X_EN: 1
; COMPUTE_PGM_RSRC2:TGID_Y_EN: 0
; COMPUTE_PGM_RSRC2:TGID_Z_EN: 0
; COMPUTE_PGM_RSRC2:TIDIG_COMP_CNT: 2
	.section	.text._ZN9rocsolver6v33100L10rot_kernelId19rocblas_complex_numIdEiEEvT1_PT0_S4_S6_S4_T_S7_,"axG",@progbits,_ZN9rocsolver6v33100L10rot_kernelId19rocblas_complex_numIdEiEEvT1_PT0_S4_S6_S4_T_S7_,comdat
	.globl	_ZN9rocsolver6v33100L10rot_kernelId19rocblas_complex_numIdEiEEvT1_PT0_S4_S6_S4_T_S7_ ; -- Begin function _ZN9rocsolver6v33100L10rot_kernelId19rocblas_complex_numIdEiEEvT1_PT0_S4_S6_S4_T_S7_
	.p2align	8
	.type	_ZN9rocsolver6v33100L10rot_kernelId19rocblas_complex_numIdEiEEvT1_PT0_S4_S6_S4_T_S7_,@function
_ZN9rocsolver6v33100L10rot_kernelId19rocblas_complex_numIdEiEEvT1_PT0_S4_S6_S4_T_S7_: ; @_ZN9rocsolver6v33100L10rot_kernelId19rocblas_complex_numIdEiEEvT1_PT0_S4_S6_S4_T_S7_
; %bb.0:
	s_load_dword s16, s[4:5], 0x0
	s_waitcnt lgkmcnt(0)
	s_cmp_lt_i32 s16, 1
	s_cbranch_scc1 .LBB38_10
; %bb.1:
	s_clause 0x6
	s_load_dword s0, s[4:5], 0x44
	s_load_dword s1, s[4:5], 0x10
	;; [unrolled: 1-line block ×4, first 2 shown]
	s_load_dwordx4 s[8:11], s[4:5], 0x28
	s_load_dwordx2 s[2:3], s[4:5], 0x8
	s_load_dwordx2 s[4:5], s[4:5], 0x18
	s_waitcnt lgkmcnt(0)
	s_and_b32 s0, s0, 0xffff
	s_cmp_eq_u32 s1, 1
	v_mad_u64_u32 v[0:1], null, s6, s0, v[0:1]
	s_cselect_b32 s13, -1, 0
	s_cmp_eq_u32 s12, 1
	s_mul_i32 s6, s7, s0
	s_cselect_b32 s14, -1, 0
	s_and_b32 s7, s13, s14
	v_cmp_gt_i32_e64 s0, s16, v0
	s_and_b32 vcc_lo, exec_lo, s7
	s_mov_b32 s7, -1
	s_cbranch_vccnz .LBB38_6
; %bb.2:
	s_and_saveexec_b32 s7, s0
	s_cbranch_execz .LBB38_5
; %bb.3:
	v_mad_i64_i32 v[1:2], null, s12, v0, 0
	v_mad_i64_i32 v[3:4], null, s1, v0, 0
	v_mov_b32_e32 v5, v0
	s_mul_hi_i32 s13, s12, s6
	s_mul_i32 s12, s12, s6
	s_mul_hi_i32 s15, s1, s6
	v_lshlrev_b64 v[1:2], 4, v[1:2]
	s_mul_i32 s14, s1, s6
	v_lshlrev_b64 v[3:4], 4, v[3:4]
	s_lshl_b64 s[12:13], s[12:13], 4
	s_lshl_b64 s[14:15], s[14:15], 4
	s_mov_b32 s17, 0
	v_add_co_u32 v1, vcc_lo, s4, v1
	v_add_co_ci_u32_e64 v2, null, s5, v2, vcc_lo
	v_add_co_u32 v3, vcc_lo, s2, v3
	v_add_co_ci_u32_e64 v4, null, s3, v4, vcc_lo
	;; [unrolled: 2-line block ×4, first 2 shown]
	s_inst_prefetch 0x1
	.p2align	6
.LBB38_4:                               ; =>This Inner Loop Header: Depth=1
	global_load_dwordx4 v[6:9], v[1:2], off offset:-8
	global_load_dwordx4 v[10:13], v[3:4], off offset:-8
	v_add_nc_u32_e32 v5, s6, v5
	v_cmp_le_i32_e32 vcc_lo, s16, v5
	s_or_b32 s17, vcc_lo, s17
	s_waitcnt vmcnt(1)
	v_mul_f64 v[14:15], s[10:11], v[6:7]
	s_waitcnt vmcnt(0)
	v_mul_f64 v[16:17], s[10:11], v[10:11]
	v_mul_f64 v[18:19], s[10:11], v[12:13]
	;; [unrolled: 1-line block ×3, first 2 shown]
	v_fma_f64 v[10:11], s[8:9], v[10:11], v[14:15]
	v_fma_f64 v[6:7], s[8:9], v[6:7], -v[16:17]
	v_fma_f64 v[8:9], s[8:9], v[8:9], -v[18:19]
	v_fma_f64 v[12:13], s[8:9], v[12:13], v[20:21]
	global_store_dwordx4 v[1:2], v[6:9], off offset:-8
	global_store_dwordx4 v[3:4], v[10:13], off offset:-8
	v_add_co_u32 v1, s1, v1, s12
	v_add_co_ci_u32_e64 v2, null, s13, v2, s1
	v_add_co_u32 v3, s1, v3, s14
	v_add_co_ci_u32_e64 v4, null, s15, v4, s1
	s_andn2_b32 exec_lo, exec_lo, s17
	s_cbranch_execnz .LBB38_4
.LBB38_5:
	s_inst_prefetch 0x2
	s_or_b32 exec_lo, exec_lo, s7
	s_mov_b32 s7, 0
.LBB38_6:
	s_andn2_b32 vcc_lo, exec_lo, s7
	s_cbranch_vccnz .LBB38_10
; %bb.7:
	s_and_saveexec_b32 s1, s0
	s_cbranch_execz .LBB38_10
; %bb.8:
	v_ashrrev_i32_e32 v1, 31, v0
	s_ashr_i32 s7, s6, 31
	s_mov_b32 s1, 0
	s_lshl_b64 s[12:13], s[6:7], 4
	v_lshlrev_b64 v[1:2], 4, v[0:1]
	s_inst_prefetch 0x1
	.p2align	6
.LBB38_9:                               ; =>This Inner Loop Header: Depth=1
	v_add_co_u32 v11, vcc_lo, s4, v1
	v_add_co_ci_u32_e64 v12, null, s5, v2, vcc_lo
	v_add_co_u32 v13, vcc_lo, s2, v1
	v_add_co_ci_u32_e64 v14, null, s3, v2, vcc_lo
	global_load_dwordx4 v[3:6], v[11:12], off
	global_load_dwordx4 v[7:10], v[13:14], off
	v_add_nc_u32_e32 v0, s6, v0
	v_add_co_u32 v1, s0, v1, s12
	v_add_co_ci_u32_e64 v2, null, s13, v2, s0
	v_cmp_le_i32_e32 vcc_lo, s16, v0
	s_or_b32 s1, vcc_lo, s1
	s_waitcnt vmcnt(1)
	v_mul_f64 v[15:16], s[10:11], v[3:4]
	s_waitcnt vmcnt(0)
	v_mul_f64 v[17:18], s[10:11], v[7:8]
	v_mul_f64 v[19:20], s[10:11], v[9:10]
	;; [unrolled: 1-line block ×3, first 2 shown]
	v_fma_f64 v[7:8], s[8:9], v[7:8], v[15:16]
	v_fma_f64 v[3:4], s[8:9], v[3:4], -v[17:18]
	v_fma_f64 v[5:6], s[8:9], v[5:6], -v[19:20]
	v_fma_f64 v[9:10], s[8:9], v[9:10], v[21:22]
	global_store_dwordx4 v[11:12], v[3:6], off
	global_store_dwordx4 v[13:14], v[7:10], off
	s_andn2_b32 exec_lo, exec_lo, s1
	s_cbranch_execnz .LBB38_9
.LBB38_10:
	s_inst_prefetch 0x2
	s_endpgm
	.section	.rodata,"a",@progbits
	.p2align	6, 0x0
	.amdhsa_kernel _ZN9rocsolver6v33100L10rot_kernelId19rocblas_complex_numIdEiEEvT1_PT0_S4_S6_S4_T_S7_
		.amdhsa_group_segment_fixed_size 0
		.amdhsa_private_segment_fixed_size 0
		.amdhsa_kernarg_size 312
		.amdhsa_user_sgpr_count 6
		.amdhsa_user_sgpr_private_segment_buffer 1
		.amdhsa_user_sgpr_dispatch_ptr 0
		.amdhsa_user_sgpr_queue_ptr 0
		.amdhsa_user_sgpr_kernarg_segment_ptr 1
		.amdhsa_user_sgpr_dispatch_id 0
		.amdhsa_user_sgpr_flat_scratch_init 0
		.amdhsa_user_sgpr_private_segment_size 0
		.amdhsa_wavefront_size32 1
		.amdhsa_uses_dynamic_stack 0
		.amdhsa_system_sgpr_private_segment_wavefront_offset 0
		.amdhsa_system_sgpr_workgroup_id_x 1
		.amdhsa_system_sgpr_workgroup_id_y 0
		.amdhsa_system_sgpr_workgroup_id_z 0
		.amdhsa_system_sgpr_workgroup_info 0
		.amdhsa_system_vgpr_workitem_id 0
		.amdhsa_next_free_vgpr 23
		.amdhsa_next_free_sgpr 18
		.amdhsa_reserve_vcc 1
		.amdhsa_reserve_flat_scratch 0
		.amdhsa_float_round_mode_32 0
		.amdhsa_float_round_mode_16_64 0
		.amdhsa_float_denorm_mode_32 3
		.amdhsa_float_denorm_mode_16_64 3
		.amdhsa_dx10_clamp 1
		.amdhsa_ieee_mode 1
		.amdhsa_fp16_overflow 0
		.amdhsa_workgroup_processor_mode 1
		.amdhsa_memory_ordered 1
		.amdhsa_forward_progress 1
		.amdhsa_shared_vgpr_count 0
		.amdhsa_exception_fp_ieee_invalid_op 0
		.amdhsa_exception_fp_denorm_src 0
		.amdhsa_exception_fp_ieee_div_zero 0
		.amdhsa_exception_fp_ieee_overflow 0
		.amdhsa_exception_fp_ieee_underflow 0
		.amdhsa_exception_fp_ieee_inexact 0
		.amdhsa_exception_int_div_zero 0
	.end_amdhsa_kernel
	.section	.text._ZN9rocsolver6v33100L10rot_kernelId19rocblas_complex_numIdEiEEvT1_PT0_S4_S6_S4_T_S7_,"axG",@progbits,_ZN9rocsolver6v33100L10rot_kernelId19rocblas_complex_numIdEiEEvT1_PT0_S4_S6_S4_T_S7_,comdat
.Lfunc_end38:
	.size	_ZN9rocsolver6v33100L10rot_kernelId19rocblas_complex_numIdEiEEvT1_PT0_S4_S6_S4_T_S7_, .Lfunc_end38-_ZN9rocsolver6v33100L10rot_kernelId19rocblas_complex_numIdEiEEvT1_PT0_S4_S6_S4_T_S7_
                                        ; -- End function
	.set _ZN9rocsolver6v33100L10rot_kernelId19rocblas_complex_numIdEiEEvT1_PT0_S4_S6_S4_T_S7_.num_vgpr, 23
	.set _ZN9rocsolver6v33100L10rot_kernelId19rocblas_complex_numIdEiEEvT1_PT0_S4_S6_S4_T_S7_.num_agpr, 0
	.set _ZN9rocsolver6v33100L10rot_kernelId19rocblas_complex_numIdEiEEvT1_PT0_S4_S6_S4_T_S7_.numbered_sgpr, 18
	.set _ZN9rocsolver6v33100L10rot_kernelId19rocblas_complex_numIdEiEEvT1_PT0_S4_S6_S4_T_S7_.num_named_barrier, 0
	.set _ZN9rocsolver6v33100L10rot_kernelId19rocblas_complex_numIdEiEEvT1_PT0_S4_S6_S4_T_S7_.private_seg_size, 0
	.set _ZN9rocsolver6v33100L10rot_kernelId19rocblas_complex_numIdEiEEvT1_PT0_S4_S6_S4_T_S7_.uses_vcc, 1
	.set _ZN9rocsolver6v33100L10rot_kernelId19rocblas_complex_numIdEiEEvT1_PT0_S4_S6_S4_T_S7_.uses_flat_scratch, 0
	.set _ZN9rocsolver6v33100L10rot_kernelId19rocblas_complex_numIdEiEEvT1_PT0_S4_S6_S4_T_S7_.has_dyn_sized_stack, 0
	.set _ZN9rocsolver6v33100L10rot_kernelId19rocblas_complex_numIdEiEEvT1_PT0_S4_S6_S4_T_S7_.has_recursion, 0
	.set _ZN9rocsolver6v33100L10rot_kernelId19rocblas_complex_numIdEiEEvT1_PT0_S4_S6_S4_T_S7_.has_indirect_call, 0
	.section	.AMDGPU.csdata,"",@progbits
; Kernel info:
; codeLenInByte = 756
; TotalNumSgprs: 20
; NumVgprs: 23
; ScratchSize: 0
; MemoryBound: 0
; FloatMode: 240
; IeeeMode: 1
; LDSByteSize: 0 bytes/workgroup (compile time only)
; SGPRBlocks: 0
; VGPRBlocks: 2
; NumSGPRsForWavesPerEU: 20
; NumVGPRsForWavesPerEU: 23
; Occupancy: 16
; WaveLimiterHint : 0
; COMPUTE_PGM_RSRC2:SCRATCH_EN: 0
; COMPUTE_PGM_RSRC2:USER_SGPR: 6
; COMPUTE_PGM_RSRC2:TRAP_HANDLER: 0
; COMPUTE_PGM_RSRC2:TGID_X_EN: 1
; COMPUTE_PGM_RSRC2:TGID_Y_EN: 0
; COMPUTE_PGM_RSRC2:TGID_Z_EN: 0
; COMPUTE_PGM_RSRC2:TIDIG_COMP_CNT: 0
	.section	.text._ZN9rocsolver6v33100L11lasr_kernelI19rocblas_complex_numIdEdPS3_iEEv13rocblas_side_14rocblas_pivot_15rocblas_direct_T2_S8_PT0_lSA_lT1_lS8_lS8_,"axG",@progbits,_ZN9rocsolver6v33100L11lasr_kernelI19rocblas_complex_numIdEdPS3_iEEv13rocblas_side_14rocblas_pivot_15rocblas_direct_T2_S8_PT0_lSA_lT1_lS8_lS8_,comdat
	.globl	_ZN9rocsolver6v33100L11lasr_kernelI19rocblas_complex_numIdEdPS3_iEEv13rocblas_side_14rocblas_pivot_15rocblas_direct_T2_S8_PT0_lSA_lT1_lS8_lS8_ ; -- Begin function _ZN9rocsolver6v33100L11lasr_kernelI19rocblas_complex_numIdEdPS3_iEEv13rocblas_side_14rocblas_pivot_15rocblas_direct_T2_S8_PT0_lSA_lT1_lS8_lS8_
	.p2align	8
	.type	_ZN9rocsolver6v33100L11lasr_kernelI19rocblas_complex_numIdEdPS3_iEEv13rocblas_side_14rocblas_pivot_15rocblas_direct_T2_S8_PT0_lSA_lT1_lS8_lS8_,@function
_ZN9rocsolver6v33100L11lasr_kernelI19rocblas_complex_numIdEdPS3_iEEv13rocblas_side_14rocblas_pivot_15rocblas_direct_T2_S8_PT0_lSA_lT1_lS8_lS8_: ; @_ZN9rocsolver6v33100L11lasr_kernelI19rocblas_complex_numIdEdPS3_iEEv13rocblas_side_14rocblas_pivot_15rocblas_direct_T2_S8_PT0_lSA_lT1_lS8_lS8_
; %bb.0:
	s_load_dword s33, s[4:5], 0x58
	s_waitcnt lgkmcnt(0)
	s_cmp_ge_u32 s7, s33
	s_cbranch_scc1 .LBB39_108
; %bb.1:
	s_clause 0x5
	s_load_dword s20, s[4:5], 0x48
	s_load_dwordx4 s[16:19], s[4:5], 0x38
	s_load_dwordx2 s[22:23], s[4:5], 0x68
	s_load_dwordx4 s[0:3], s[4:5], 0x0
	s_load_dword s56, s[4:5], 0x10
	s_load_dwordx8 s[8:15], s[4:5], 0x18
	v_mov_b32_e32 v38, 0
	s_waitcnt lgkmcnt(0)
	s_ashr_i32 s21, s20, 31
	s_lshl_b64 s[38:39], s[18:19], 4
	s_and_b32 s24, s23, 0xffff
	s_add_u32 s23, s16, s38
	s_addc_u32 s57, s17, s39
	s_cmpk_eq_i32 s0, 0x8d
	v_mad_u64_u32 v[4:5], null, s6, s24, v[0:1]
	s_cselect_b32 s25, -1, 0
	s_cmpk_eq_i32 s0, 0x8e
	s_cselect_b32 s26, -1, 0
	s_cmpk_eq_i32 s1, 0x119
	;; [unrolled: 2-line block ×3, first 2 shown]
	v_ashrrev_i32_e32 v5, 31, v4
	s_cselect_b32 s27, -1, 0
	s_cmpk_eq_i32 s1, 0x11a
	s_clause 0x1
	s_load_dwordx2 s[18:19], s[4:5], 0x50
	s_load_dword s1, s[4:5], 0x60
	s_cselect_b32 s28, -1, 0
	s_cmpk_eq_i32 s2, 0xab
	v_lshlrev_b64 v[0:1], 4, v[4:5]
	s_cselect_b32 s4, -1, 0
	s_cmpk_eq_i32 s2, 0xac
	s_cselect_b32 s2, -1, 0
	s_and_b32 s5, s25, s0
	s_and_b32 s6, s25, s28
	;; [unrolled: 1-line block ×6, first 2 shown]
	s_xor_b32 s58, s5, -1
	s_and_b32 s5, s25, s2
	s_and_b32 s34, s25, s4
	;; [unrolled: 1-line block ×4, first 2 shown]
	s_xor_b32 s62, s5, -1
	s_and_b32 s5, s26, s28
	s_xor_b32 s64, s0, -1
	v_cmp_gt_i32_e64 s0, s3, v4
	s_xor_b32 s63, s25, -1
	s_and_b32 s25, s5, s4
	s_and_b32 s30, s6, s4
	s_xor_b32 s65, s25, -1
	s_and_b32 s25, s26, s27
	s_and_b32 s31, s6, s2
	;; [unrolled: 1-line block ×5, first 2 shown]
	s_xor_b32 s6, s29, -1
	s_xor_b32 s59, s30, -1
	;; [unrolled: 1-line block ×6, first 2 shown]
	s_and_b32 s68, s25, s2
	s_add_i32 s69, s56, -1
	s_add_i32 s4, s56, -2
	s_cmp_gt_i32 s56, 1
	s_mov_b32 s5, 0
	s_cselect_b32 s70, -1, 0
	s_ashr_i32 s27, s3, 31
	s_add_i32 s40, s3, -2
	s_cmp_gt_i32 s3, 1
	s_waitcnt lgkmcnt(0)
	s_mul_i32 s24, s1, s24
	s_cselect_b32 s71, -1, 0
	s_lshl_b64 s[30:31], s[4:5], 3
	s_mul_i32 s1, s21, s4
	s_add_u32 s72, s8, s30
	s_addc_u32 s73, s9, s31
	s_lshl_b64 s[10:11], s[10:11], 3
	s_mul_hi_u32 s2, s20, s4
	s_add_u32 s74, s12, s30
	s_addc_u32 s75, s13, s31
	s_add_i32 s31, s2, s1
	s_mul_i32 s30, s20, s4
	s_lshl_b64 s[14:15], s[14:15], 3
	s_lshl_b64 s[30:31], s[30:31], 4
	s_mul_i32 s28, s20, s69
	s_add_u32 s1, s30, s38
	s_addc_u32 s2, s31, s39
	s_add_u32 s1, s16, s1
	s_addc_u32 s2, s17, s2
	v_add_co_u32 v16, vcc_lo, s1, v0
	s_ashr_i32 s25, s24, 31
	s_lshl_b64 s[34:35], s[20:21], 4
	v_add_co_ci_u32_e64 v17, null, s2, v1, vcc_lo
	s_lshl_b64 s[30:31], s[18:19], 4
	s_lshl_b64 s[36:37], s[24:25], 4
	s_mul_i32 s2, s21, s69
	s_mul_hi_u32 s4, s20, s69
	s_sub_u32 s25, 0, s34
	s_subb_u32 s21, 0, s35
	s_add_i32 s43, s4, s2
	s_mov_b32 s42, s28
	s_add_i32 s76, s56, 1
	s_lshl_b64 s[42:43], s[42:43], 4
	v_add_co_u32 v18, vcc_lo, v16, 8
	s_add_u32 s2, s42, s38
	s_addc_u32 s4, s43, s39
	v_add_co_ci_u32_e64 v19, null, 0, v17, vcc_lo
	v_add_co_u32 v2, vcc_lo, s23, v0
	s_add_u32 s2, s16, s2
	v_add_co_ci_u32_e64 v3, null, s57, v1, vcc_lo
	s_addc_u32 s4, s17, s4
	v_add_co_u32 v5, vcc_lo, s2, v0
	v_add_co_ci_u32_e64 v6, null, s4, v1, vcc_lo
	v_add_co_u32 v20, vcc_lo, v2, 8
	s_add_u32 s2, s38, s34
	s_addc_u32 s4, s39, s35
	v_add_co_ci_u32_e64 v21, null, 0, v3, vcc_lo
	v_add_co_u32 v22, vcc_lo, v5, 8
	s_add_u32 s2, s16, s2
	v_add_co_ci_u32_e64 v23, null, 0, v6, vcc_lo
	s_addc_u32 s4, s17, s4
	v_add_co_u32 v2, vcc_lo, s2, v0
	v_add_co_ci_u32_e64 v3, null, s4, v1, vcc_lo
	v_mad_i64_i32 v[0:1], null, s20, v4, 0
	s_mov_b32 s41, s5
	s_add_i32 s4, s3, -1
	s_lshl_b64 s[42:43], s[40:41], 3
	v_add_co_u32 v24, vcc_lo, v2, 8
	s_add_u32 s77, s8, s42
	v_lshlrev_b64 v[0:1], 4, v[0:1]
	s_addc_u32 s78, s9, s43
	v_add_co_ci_u32_e64 v25, null, 0, v3, vcc_lo
	s_add_u32 s79, s12, s42
	s_addc_u32 s80, s13, s43
	v_add_co_u32 v0, vcc_lo, v0, s38
	s_lshl_b64 s[40:41], s[40:41], 4
	v_add_co_ci_u32_e64 v1, null, s39, v1, vcc_lo
	s_add_u32 s2, s16, s40
	s_addc_u32 s26, s17, s41
	v_add_co_u32 v26, vcc_lo, s2, v0
	v_add_co_ci_u32_e64 v27, null, s26, v1, vcc_lo
	s_mul_hi_i32 s39, s20, s24
	s_mul_i32 s38, s20, s24
	v_add_co_u32 v28, vcc_lo, v26, 8
	s_lshl_b64 s[40:41], s[4:5], 4
	s_lshl_b64 s[38:39], s[38:39], 4
	s_add_i32 s5, s3, 1
	v_add_co_ci_u32_e64 v29, null, 0, v27, vcc_lo
	v_add_co_u32 v2, vcc_lo, s16, v0
	s_add_u32 s2, s16, s40
	v_add_co_ci_u32_e64 v3, null, s17, v1, vcc_lo
	s_addc_u32 s16, s17, s41
	v_add_co_u32 v0, vcc_lo, s2, v0
	v_add_co_ci_u32_e64 v1, null, s16, v1, vcc_lo
	v_add_co_u32 v30, vcc_lo, v2, 8
	v_add_co_ci_u32_e64 v31, null, 0, v3, vcc_lo
	v_add_co_u32 v32, vcc_lo, v0, 8
	v_add_co_ci_u32_e64 v33, null, 0, v1, vcc_lo
	v_add_co_u32 v34, vcc_lo, v2, 16
	v_add_co_ci_u32_e64 v35, null, 0, v3, vcc_lo
	v_add_co_u32 v36, vcc_lo, v2, 24
	v_cmp_gt_i32_e64 s1, s56, v4
	v_add_co_ci_u32_e64 v37, null, 0, v3, vcc_lo
	s_mul_hi_i32 s29, s20, s69
	s_mov_b32 s26, s3
	s_branch .LBB39_4
.LBB39_2:                               ;   in Loop: Header=BB39_4 Depth=1
	s_or_b32 exec_lo, exec_lo, s46
.LBB39_3:                               ;   in Loop: Header=BB39_4 Depth=1
	s_add_i32 s7, s7, s22
	s_cmp_ge_u32 s7, s33
	s_cbranch_scc1 .LBB39_108
.LBB39_4:                               ; =>This Loop Header: Depth=1
                                        ;     Child Loop BB39_19 Depth 2
                                        ;       Child Loop BB39_20 Depth 3
                                        ;     Child Loop BB39_26 Depth 2
                                        ;       Child Loop BB39_27 Depth 3
	;; [unrolled: 2-line block ×12, first 2 shown]
	s_mul_i32 s16, s15, s7
	s_mul_hi_u32 s17, s14, s7
	s_mul_i32 s2, s14, s7
	s_add_i32 s49, s17, s16
	s_mul_i32 s40, s11, s7
	s_mul_hi_u32 s41, s10, s7
	s_add_u32 s16, s12, s2
	s_mul_i32 s46, s10, s7
	s_addc_u32 s17, s13, s49
	s_add_i32 s47, s41, s40
	s_mul_i32 s42, s19, s7
	s_mul_hi_u32 s43, s18, s7
	s_add_u32 s40, s8, s46
	s_addc_u32 s41, s9, s47
	s_add_i32 s43, s43, s42
	s_mul_i32 s42, s18, s7
	s_mul_i32 s44, s31, s7
	s_mul_hi_u32 s83, s30, s7
	s_lshl_b64 s[42:43], s[42:43], 4
	s_add_i32 s83, s83, s44
	s_add_u32 s81, s23, s42
	s_mul_i32 s84, s30, s7
	s_addc_u32 s82, s57, s43
	s_and_b32 vcc_lo, exec_lo, s6
	s_mov_b32 s42, -1
	s_cbranch_vccnz .LBB39_6
; %bb.5:                                ;   in Loop: Header=BB39_4 Depth=1
	s_andn2_b32 vcc_lo, exec_lo, s42
	s_cbranch_vccnz .LBB39_3
	s_branch .LBB39_103
.LBB39_6:                               ;   in Loop: Header=BB39_4 Depth=1
	s_add_u32 s42, s77, s46
	s_addc_u32 s43, s78, s47
	s_add_u32 s44, s79, s2
	s_addc_u32 s45, s80, s49
	s_and_b32 vcc_lo, exec_lo, s58
	s_mov_b32 s48, -1
	s_cbranch_vccz .LBB39_95
; %bb.7:                                ;   in Loop: Header=BB39_4 Depth=1
	s_and_b32 vcc_lo, exec_lo, s59
	s_cbranch_vccz .LBB39_87
; %bb.8:                                ;   in Loop: Header=BB39_4 Depth=1
	s_and_b32 vcc_lo, exec_lo, s60
	;; [unrolled: 3-line block ×3, first 2 shown]
	s_cbranch_vccz .LBB39_71
; %bb.10:                               ;   in Loop: Header=BB39_4 Depth=1
	s_and_b32 vcc_lo, exec_lo, s62
	s_cbranch_vccz .LBB39_63
; %bb.11:                               ;   in Loop: Header=BB39_4 Depth=1
	v_add_co_u32 v5, vcc_lo, v20, s84
	v_add_co_ci_u32_e64 v6, null, s83, v21, vcc_lo
	s_and_b32 vcc_lo, exec_lo, s63
	s_cbranch_vccz .LBB39_55
; %bb.12:                               ;   in Loop: Header=BB39_4 Depth=1
	v_add_co_u32 v7, vcc_lo, v22, s84
	v_add_co_ci_u32_e64 v8, null, s83, v23, vcc_lo
	s_add_u32 s46, s72, s46
	s_addc_u32 s47, s73, s47
	s_add_u32 s48, s74, s2
	s_addc_u32 s49, s75, s49
	s_and_b32 vcc_lo, exec_lo, s64
	s_mov_b32 s2, -1
	s_cbranch_vccz .LBB39_46
; %bb.13:                               ;   in Loop: Header=BB39_4 Depth=1
	s_and_b32 vcc_lo, exec_lo, s65
	s_cbranch_vccz .LBB39_38
; %bb.14:                               ;   in Loop: Header=BB39_4 Depth=1
	s_and_b32 vcc_lo, exec_lo, s66
	;; [unrolled: 3-line block ×3, first 2 shown]
	s_cbranch_vccz .LBB39_22
; %bb.16:                               ;   in Loop: Header=BB39_4 Depth=1
	s_and_saveexec_b32 s54, s68
	s_cbranch_execz .LBB39_21
; %bb.17:                               ;   in Loop: Header=BB39_4 Depth=1
	v_add_co_u32 v9, vcc_lo, v18, s84
	v_add_co_ci_u32_e64 v10, null, s83, v19, vcc_lo
	s_lshl_b64 s[50:51], s[28:29], 4
	v_mov_b32_e32 v11, v4
	s_add_u32 s55, s81, s50
	s_addc_u32 s85, s82, s51
	s_mov_b32 s86, 0
	s_branch .LBB39_19
.LBB39_18:                              ;   in Loop: Header=BB39_19 Depth=2
	v_add_nc_u32_e32 v11, s24, v11
	v_add_co_u32 v9, s2, v9, s36
	v_add_co_ci_u32_e64 v10, null, s37, v10, s2
	v_cmp_le_i32_e32 vcc_lo, s3, v11
	s_waitcnt vmcnt(0)
	global_store_dwordx4 v[12:13], v[0:3], off
	s_or_b32 s86, vcc_lo, s86
	s_andn2_b32 exec_lo, exec_lo, s86
	s_cbranch_execz .LBB39_21
.LBB39_19:                              ;   Parent Loop BB39_4 Depth=1
                                        ; =>  This Loop Header: Depth=2
                                        ;       Child Loop BB39_20 Depth 3
	v_ashrrev_i32_e32 v12, 31, v11
	v_mov_b32_e32 v15, v10
	v_mov_b32_e32 v14, v9
	s_mov_b64 s[50:51], s[48:49]
	s_mov_b64 s[52:53], s[46:47]
	v_lshlrev_b64 v[0:1], 4, v[11:12]
	s_mov_b32 s2, s69
	v_add_co_u32 v12, vcc_lo, s55, v0
	v_add_co_ci_u32_e64 v13, null, s85, v1, vcc_lo
	s_andn2_b32 vcc_lo, exec_lo, s70
	global_load_dwordx4 v[0:3], v[12:13], off
	s_cbranch_vccnz .LBB39_18
	.p2align	6
.LBB39_20:                              ;   Parent Loop BB39_4 Depth=1
                                        ;     Parent Loop BB39_19 Depth=2
                                        ; =>    This Inner Loop Header: Depth=3
	global_load_dwordx4 v[39:42], v[14:15], off offset:-8
	s_clause 0x1
	global_load_dwordx2 v[43:44], v38, s[52:53]
	global_load_dwordx2 v[45:46], v38, s[50:51]
	s_add_i32 s2, s2, -1
	s_add_u32 s52, s52, -8
	s_addc_u32 s53, s53, -1
	s_add_u32 s50, s50, -8
	s_addc_u32 s51, s51, -1
	s_cmp_eq_u32 s2, 0
	s_waitcnt vmcnt(1)
	v_mul_f64 v[47:48], v[43:44], v[39:40]
	v_mul_f64 v[49:50], v[43:44], v[41:42]
	s_waitcnt vmcnt(0)
	v_mul_f64 v[51:52], v[45:46], v[39:40]
	v_mul_f64 v[53:54], v[45:46], v[41:42]
	v_fma_f64 v[39:40], v[0:1], v[45:46], v[47:48]
	v_fma_f64 v[41:42], v[2:3], v[45:46], v[49:50]
	v_fma_f64 v[0:1], v[0:1], v[43:44], -v[51:52]
	v_fma_f64 v[2:3], v[2:3], v[43:44], -v[53:54]
	global_store_dwordx4 v[14:15], v[39:42], off offset:-8
	v_add_co_u32 v14, vcc_lo, v14, s25
	v_add_co_ci_u32_e64 v15, null, s21, v15, vcc_lo
	s_cbranch_scc0 .LBB39_20
	s_branch .LBB39_18
.LBB39_21:                              ;   in Loop: Header=BB39_4 Depth=1
	s_or_b32 exec_lo, exec_lo, s54
	s_mov_b32 s2, 0
.LBB39_22:                              ;   in Loop: Header=BB39_4 Depth=1
	s_andn2_b32 vcc_lo, exec_lo, s2
	s_cbranch_vccnz .LBB39_29
; %bb.23:                               ;   in Loop: Header=BB39_4 Depth=1
	s_and_saveexec_b32 s54, s0
	s_cbranch_execz .LBB39_28
; %bb.24:                               ;   in Loop: Header=BB39_4 Depth=1
	v_mov_b32_e32 v10, v6
	s_lshl_b64 s[50:51], s[28:29], 4
	v_mov_b32_e32 v9, v5
	v_mov_b32_e32 v11, v4
	s_add_u32 s55, s81, s50
	s_addc_u32 s85, s82, s51
	s_mov_b32 s86, 0
	s_branch .LBB39_26
.LBB39_25:                              ;   in Loop: Header=BB39_26 Depth=2
	v_add_nc_u32_e32 v11, s24, v11
	v_add_co_u32 v9, s2, v9, s36
	v_add_co_ci_u32_e64 v10, null, s37, v10, s2
	v_cmp_le_i32_e32 vcc_lo, s3, v11
	s_waitcnt vmcnt(0)
	global_store_dwordx4 v[12:13], v[0:3], off
	s_or_b32 s86, vcc_lo, s86
	s_andn2_b32 exec_lo, exec_lo, s86
	s_cbranch_execz .LBB39_28
.LBB39_26:                              ;   Parent Loop BB39_4 Depth=1
                                        ; =>  This Loop Header: Depth=2
                                        ;       Child Loop BB39_27 Depth 3
	v_ashrrev_i32_e32 v12, 31, v11
	v_mov_b32_e32 v15, v10
	v_mov_b32_e32 v14, v9
	s_mov_b64 s[50:51], s[16:17]
	s_mov_b64 s[52:53], s[40:41]
	v_lshlrev_b64 v[0:1], 4, v[11:12]
	s_mov_b32 s2, s69
	v_add_co_u32 v12, vcc_lo, s55, v0
	v_add_co_ci_u32_e64 v13, null, s85, v1, vcc_lo
	s_andn2_b32 vcc_lo, exec_lo, s70
	global_load_dwordx4 v[0:3], v[12:13], off
	s_cbranch_vccnz .LBB39_25
	.p2align	6
.LBB39_27:                              ;   Parent Loop BB39_4 Depth=1
                                        ;     Parent Loop BB39_26 Depth=2
                                        ; =>    This Inner Loop Header: Depth=3
	global_load_dwordx4 v[39:42], v[14:15], off offset:-8
	s_clause 0x1
	global_load_dwordx2 v[43:44], v38, s[52:53]
	global_load_dwordx2 v[45:46], v38, s[50:51]
	s_add_i32 s2, s2, -1
	s_add_u32 s52, s52, 8
	s_addc_u32 s53, s53, 0
	s_add_u32 s50, s50, 8
	s_addc_u32 s51, s51, 0
	s_cmp_eq_u32 s2, 0
	s_waitcnt vmcnt(1)
	v_mul_f64 v[47:48], v[43:44], v[39:40]
	v_mul_f64 v[49:50], v[43:44], v[41:42]
	s_waitcnt vmcnt(0)
	v_mul_f64 v[51:52], v[45:46], v[39:40]
	v_mul_f64 v[53:54], v[45:46], v[41:42]
	v_fma_f64 v[39:40], v[0:1], v[45:46], v[47:48]
	v_fma_f64 v[41:42], v[2:3], v[45:46], v[49:50]
	v_fma_f64 v[0:1], v[0:1], v[43:44], -v[51:52]
	v_fma_f64 v[2:3], v[2:3], v[43:44], -v[53:54]
	global_store_dwordx4 v[14:15], v[39:42], off offset:-8
	v_add_co_u32 v14, vcc_lo, v14, s34
	v_add_co_ci_u32_e64 v15, null, s35, v15, vcc_lo
	s_cbranch_scc0 .LBB39_27
	s_branch .LBB39_25
.LBB39_28:                              ;   in Loop: Header=BB39_4 Depth=1
	s_or_b32 exec_lo, exec_lo, s54
.LBB39_29:                              ;   in Loop: Header=BB39_4 Depth=1
	s_mov_b32 s2, 0
.LBB39_30:                              ;   in Loop: Header=BB39_4 Depth=1
	s_andn2_b32 vcc_lo, exec_lo, s2
	s_cbranch_vccnz .LBB39_37
; %bb.31:                               ;   in Loop: Header=BB39_4 Depth=1
	s_and_saveexec_b32 s54, s0
	s_cbranch_execz .LBB39_36
; %bb.32:                               ;   in Loop: Header=BB39_4 Depth=1
	v_mov_b32_e32 v10, v8
	v_mov_b32_e32 v9, v7
	;; [unrolled: 1-line block ×3, first 2 shown]
	s_mov_b32 s55, 0
	s_branch .LBB39_34
.LBB39_33:                              ;   in Loop: Header=BB39_34 Depth=2
	v_add_nc_u32_e32 v11, s24, v11
	v_add_co_u32 v9, s2, v9, s36
	v_add_co_ci_u32_e64 v10, null, s37, v10, s2
	v_cmp_le_i32_e32 vcc_lo, s3, v11
	s_waitcnt vmcnt(0)
	global_store_dwordx4 v[12:13], v[0:3], off
	s_or_b32 s55, vcc_lo, s55
	s_andn2_b32 exec_lo, exec_lo, s55
	s_cbranch_execz .LBB39_36
.LBB39_34:                              ;   Parent Loop BB39_4 Depth=1
                                        ; =>  This Loop Header: Depth=2
                                        ;       Child Loop BB39_35 Depth 3
	v_ashrrev_i32_e32 v12, 31, v11
	v_mov_b32_e32 v15, v10
	v_mov_b32_e32 v14, v9
	s_mov_b64 s[50:51], s[48:49]
	s_mov_b64 s[52:53], s[46:47]
	v_lshlrev_b64 v[0:1], 4, v[11:12]
	s_mov_b32 s2, s76
	v_add_co_u32 v12, vcc_lo, s81, v0
	v_add_co_ci_u32_e64 v13, null, s82, v1, vcc_lo
	s_andn2_b32 vcc_lo, exec_lo, s70
	global_load_dwordx4 v[0:3], v[12:13], off
	s_cbranch_vccnz .LBB39_33
	.p2align	6
.LBB39_35:                              ;   Parent Loop BB39_4 Depth=1
                                        ;     Parent Loop BB39_34 Depth=2
                                        ; =>    This Inner Loop Header: Depth=3
	s_clause 0x1
	global_load_dwordx2 v[43:44], v38, s[50:51]
	global_load_dwordx2 v[45:46], v38, s[52:53]
	global_load_dwordx4 v[39:42], v[14:15], off offset:-8
	s_add_i32 s2, s2, -1
	s_add_u32 s52, s52, -8
	s_addc_u32 s53, s53, -1
	s_add_u32 s50, s50, -8
	s_addc_u32 s51, s51, -1
	s_cmp_lt_u32 s2, 3
	s_waitcnt vmcnt(2)
	v_mul_f64 v[47:48], v[0:1], v[43:44]
	v_mul_f64 v[49:50], v[2:3], v[43:44]
	s_waitcnt vmcnt(0)
	v_mul_f64 v[51:52], v[43:44], v[39:40]
	v_mul_f64 v[43:44], v[43:44], v[41:42]
	v_fma_f64 v[39:40], v[45:46], v[39:40], -v[47:48]
	v_fma_f64 v[41:42], v[45:46], v[41:42], -v[49:50]
	v_fma_f64 v[0:1], v[0:1], v[45:46], v[51:52]
	v_fma_f64 v[2:3], v[2:3], v[45:46], v[43:44]
	global_store_dwordx4 v[14:15], v[39:42], off offset:-8
	v_add_co_u32 v14, vcc_lo, v14, s25
	v_add_co_ci_u32_e64 v15, null, s21, v15, vcc_lo
	s_cbranch_scc0 .LBB39_35
	s_branch .LBB39_33
.LBB39_36:                              ;   in Loop: Header=BB39_4 Depth=1
	s_or_b32 exec_lo, exec_lo, s54
.LBB39_37:                              ;   in Loop: Header=BB39_4 Depth=1
	s_mov_b32 s2, 0
.LBB39_38:                              ;   in Loop: Header=BB39_4 Depth=1
	s_andn2_b32 vcc_lo, exec_lo, s2
	s_cbranch_vccnz .LBB39_45
; %bb.39:                               ;   in Loop: Header=BB39_4 Depth=1
	s_and_saveexec_b32 s54, s0
	s_cbranch_execz .LBB39_44
; %bb.40:                               ;   in Loop: Header=BB39_4 Depth=1
	v_add_co_u32 v9, vcc_lo, v24, s84
	v_add_co_ci_u32_e64 v10, null, s83, v25, vcc_lo
	v_mov_b32_e32 v11, v4
	s_mov_b32 s55, 0
	s_branch .LBB39_42
.LBB39_41:                              ;   in Loop: Header=BB39_42 Depth=2
	v_add_nc_u32_e32 v11, s24, v11
	v_add_co_u32 v9, s2, v9, s36
	v_add_co_ci_u32_e64 v10, null, s37, v10, s2
	v_cmp_le_i32_e32 vcc_lo, s3, v11
	s_waitcnt vmcnt(0)
	global_store_dwordx4 v[12:13], v[0:3], off
	s_or_b32 s55, vcc_lo, s55
	s_andn2_b32 exec_lo, exec_lo, s55
	s_cbranch_execz .LBB39_44
.LBB39_42:                              ;   Parent Loop BB39_4 Depth=1
                                        ; =>  This Loop Header: Depth=2
                                        ;       Child Loop BB39_43 Depth 3
	v_ashrrev_i32_e32 v12, 31, v11
	v_mov_b32_e32 v15, v10
	v_mov_b32_e32 v14, v9
	s_mov_b32 s2, s69
	s_mov_b64 s[50:51], s[40:41]
	v_lshlrev_b64 v[0:1], 4, v[11:12]
	s_mov_b64 s[52:53], s[16:17]
	v_add_co_u32 v12, vcc_lo, s81, v0
	v_add_co_ci_u32_e64 v13, null, s82, v1, vcc_lo
	s_andn2_b32 vcc_lo, exec_lo, s70
	global_load_dwordx4 v[0:3], v[12:13], off
	s_cbranch_vccnz .LBB39_41
	.p2align	6
.LBB39_43:                              ;   Parent Loop BB39_4 Depth=1
                                        ;     Parent Loop BB39_42 Depth=2
                                        ; =>    This Inner Loop Header: Depth=3
	s_clause 0x1
	global_load_dwordx2 v[43:44], v38, s[52:53]
	global_load_dwordx2 v[45:46], v38, s[50:51]
	global_load_dwordx4 v[39:42], v[14:15], off offset:-8
	s_add_u32 s52, s52, 8
	s_addc_u32 s53, s53, 0
	s_add_u32 s50, s50, 8
	s_addc_u32 s51, s51, 0
	s_add_i32 s2, s2, -1
	s_cmp_eq_u32 s2, 0
	s_waitcnt vmcnt(2)
	v_mul_f64 v[47:48], v[0:1], v[43:44]
	v_mul_f64 v[49:50], v[2:3], v[43:44]
	s_waitcnt vmcnt(0)
	v_mul_f64 v[51:52], v[43:44], v[39:40]
	v_mul_f64 v[43:44], v[43:44], v[41:42]
	v_fma_f64 v[39:40], v[45:46], v[39:40], -v[47:48]
	v_fma_f64 v[41:42], v[45:46], v[41:42], -v[49:50]
	v_fma_f64 v[0:1], v[0:1], v[45:46], v[51:52]
	v_fma_f64 v[2:3], v[2:3], v[45:46], v[43:44]
	global_store_dwordx4 v[14:15], v[39:42], off offset:-8
	v_add_co_u32 v14, vcc_lo, v14, s34
	v_add_co_ci_u32_e64 v15, null, s35, v15, vcc_lo
	s_cbranch_scc0 .LBB39_43
	s_branch .LBB39_41
.LBB39_44:                              ;   in Loop: Header=BB39_4 Depth=1
	s_or_b32 exec_lo, exec_lo, s54
.LBB39_45:                              ;   in Loop: Header=BB39_4 Depth=1
	s_mov_b32 s2, 0
.LBB39_46:                              ;   in Loop: Header=BB39_4 Depth=1
	s_andn2_b32 vcc_lo, exec_lo, s2
	s_cbranch_vccnz .LBB39_54
; %bb.47:                               ;   in Loop: Header=BB39_4 Depth=1
	s_and_saveexec_b32 s85, s0
	s_cbranch_execz .LBB39_53
; %bb.48:                               ;   in Loop: Header=BB39_4 Depth=1
	v_add_co_u32 v12, vcc_lo, v16, s84
	v_add_co_ci_u32_e64 v13, null, s83, v17, vcc_lo
	s_lshl_b64 s[50:51], s[28:29], 4
	v_mov_b32_e32 v9, v4
	s_add_u32 s86, s81, s50
	s_addc_u32 s87, s82, s51
	s_mov_b32 s88, 0
	s_branch .LBB39_50
.LBB39_49:                              ;   in Loop: Header=BB39_50 Depth=2
	s_inst_prefetch 0x2
	v_add_nc_u32_e32 v9, s24, v9
	v_add_co_u32 v10, vcc_lo, s81, v10
	v_add_co_ci_u32_e64 v11, null, s82, v11, vcc_lo
	v_add_co_u32 v12, vcc_lo, v12, s36
	v_add_co_ci_u32_e64 v13, null, s37, v13, vcc_lo
	v_cmp_le_i32_e32 vcc_lo, s3, v9
	v_add_co_u32 v7, s2, v7, s36
	v_add_co_ci_u32_e64 v8, null, s37, v8, s2
	s_or_b32 s88, vcc_lo, s88
	s_waitcnt vmcnt(0)
	global_store_dwordx4 v[10:11], v[0:3], off
	s_andn2_b32 exec_lo, exec_lo, s88
	s_cbranch_execz .LBB39_53
.LBB39_50:                              ;   Parent Loop BB39_4 Depth=1
                                        ; =>  This Loop Header: Depth=2
                                        ;       Child Loop BB39_52 Depth 3
	v_ashrrev_i32_e32 v10, 31, v9
	v_lshlrev_b64 v[10:11], 4, v[9:10]
	v_add_co_u32 v0, vcc_lo, s86, v10
	v_add_co_ci_u32_e64 v1, null, s87, v11, vcc_lo
	s_andn2_b32 vcc_lo, exec_lo, s70
	global_load_dwordx4 v[0:3], v[0:1], off
	s_cbranch_vccnz .LBB39_49
; %bb.51:                               ;   in Loop: Header=BB39_50 Depth=2
	s_mov_b64 s[50:51], 0
	s_mov_b64 s[52:53], s[48:49]
	;; [unrolled: 1-line block ×3, first 2 shown]
	s_mov_b32 s2, s69
	s_inst_prefetch 0x1
	.p2align	6
.LBB39_52:                              ;   Parent Loop BB39_4 Depth=1
                                        ;     Parent Loop BB39_50 Depth=2
                                        ; =>    This Inner Loop Header: Depth=3
	v_add_co_u32 v14, vcc_lo, v12, s50
	v_add_co_ci_u32_e64 v15, null, s51, v13, vcc_lo
	s_add_i32 s2, s2, -1
	s_clause 0x1
	global_load_dwordx2 v[43:44], v38, s[54:55]
	global_load_dwordx2 v[45:46], v38, s[52:53]
	global_load_dwordx4 v[39:42], v[14:15], off
	s_waitcnt vmcnt(0)
	v_mul_f64 v[14:15], v[45:46], v[39:40]
	v_mul_f64 v[47:48], v[45:46], v[41:42]
	;; [unrolled: 1-line block ×4, first 2 shown]
	v_fma_f64 v[39:40], v[0:1], v[43:44], -v[14:15]
	v_fma_f64 v[41:42], v[2:3], v[43:44], -v[47:48]
	v_fma_f64 v[0:1], v[0:1], v[45:46], v[49:50]
	v_fma_f64 v[2:3], v[2:3], v[45:46], v[51:52]
	v_add_co_u32 v14, vcc_lo, v7, s50
	s_sub_u32 s50, s50, s34
	v_add_co_ci_u32_e64 v15, null, s51, v8, vcc_lo
	s_subb_u32 s51, s51, s35
	s_add_u32 s54, s54, -8
	s_addc_u32 s55, s55, -1
	s_add_u32 s52, s52, -8
	s_addc_u32 s53, s53, -1
	s_cmp_eq_u32 s2, 0
	global_store_dwordx4 v[14:15], v[39:42], off offset:-8
	s_cbranch_scc0 .LBB39_52
	s_branch .LBB39_49
.LBB39_53:                              ;   in Loop: Header=BB39_4 Depth=1
	s_or_b32 exec_lo, exec_lo, s85
.LBB39_54:                              ;   in Loop: Header=BB39_4 Depth=1
	s_mov_b32 s48, 0
.LBB39_55:                              ;   in Loop: Header=BB39_4 Depth=1
	s_andn2_b32 vcc_lo, exec_lo, s48
	s_cbranch_vccnz .LBB39_62
; %bb.56:                               ;   in Loop: Header=BB39_4 Depth=1
	s_and_saveexec_b32 s50, s0
	s_cbranch_execz .LBB39_61
; %bb.57:                               ;   in Loop: Header=BB39_4 Depth=1
	s_lshl_b64 s[46:47], s[28:29], 4
	v_mov_b32_e32 v7, v4
	s_add_u32 s51, s81, s46
	s_addc_u32 s52, s82, s47
	s_mov_b32 s53, 0
	s_branch .LBB39_59
.LBB39_58:                              ;   in Loop: Header=BB39_59 Depth=2
	v_add_nc_u32_e32 v7, s24, v7
	v_add_co_u32 v8, vcc_lo, s51, v8
	v_add_co_ci_u32_e64 v9, null, s52, v9, vcc_lo
	v_cmp_le_i32_e32 vcc_lo, s3, v7
	v_add_co_u32 v5, s2, v5, s36
	v_add_co_ci_u32_e64 v6, null, s37, v6, s2
	s_or_b32 s53, vcc_lo, s53
	s_waitcnt vmcnt(0)
	global_store_dwordx4 v[8:9], v[0:3], off
	s_andn2_b32 exec_lo, exec_lo, s53
	s_cbranch_execz .LBB39_61
.LBB39_59:                              ;   Parent Loop BB39_4 Depth=1
                                        ; =>  This Loop Header: Depth=2
                                        ;       Child Loop BB39_60 Depth 3
	v_ashrrev_i32_e32 v8, 31, v7
	v_mov_b32_e32 v11, v6
	v_mov_b32_e32 v10, v5
	s_mov_b64 s[46:47], s[16:17]
	s_mov_b64 s[48:49], s[40:41]
	v_lshlrev_b64 v[8:9], 4, v[7:8]
	s_mov_b32 s2, s69
	v_add_co_u32 v0, vcc_lo, s81, v8
	v_add_co_ci_u32_e64 v1, null, s82, v9, vcc_lo
	s_andn2_b32 vcc_lo, exec_lo, s70
	global_load_dwordx4 v[0:3], v[0:1], off
	s_cbranch_vccnz .LBB39_58
	.p2align	6
.LBB39_60:                              ;   Parent Loop BB39_4 Depth=1
                                        ;     Parent Loop BB39_59 Depth=2
                                        ; =>    This Inner Loop Header: Depth=3
	v_add_co_u32 v43, vcc_lo, v10, s34
	v_add_co_ci_u32_e64 v44, null, s35, v11, vcc_lo
	s_add_i32 s2, s2, -1
	global_load_dwordx4 v[12:15], v[43:44], off offset:-8
	s_clause 0x1
	global_load_dwordx2 v[39:40], v38, s[46:47]
	global_load_dwordx2 v[45:46], v38, s[48:49]
	s_add_u32 s48, s48, 8
	s_addc_u32 s49, s49, 0
	s_add_u32 s46, s46, 8
	s_addc_u32 s47, s47, 0
	s_cmp_eq_u32 s2, 0
	s_waitcnt vmcnt(1)
	v_mul_f64 v[41:42], v[39:40], v[12:13]
	v_mul_f64 v[47:48], v[39:40], v[14:15]
	;; [unrolled: 1-line block ×4, first 2 shown]
	s_waitcnt vmcnt(0)
	v_fma_f64 v[39:40], v[0:1], v[45:46], v[41:42]
	v_fma_f64 v[41:42], v[2:3], v[45:46], v[47:48]
	v_fma_f64 v[0:1], v[45:46], v[12:13], -v[49:50]
	v_fma_f64 v[2:3], v[45:46], v[14:15], -v[51:52]
	global_store_dwordx4 v[10:11], v[39:42], off offset:-8
	v_mov_b32_e32 v10, v43
	v_mov_b32_e32 v11, v44
	s_cbranch_scc0 .LBB39_60
	s_branch .LBB39_58
.LBB39_61:                              ;   in Loop: Header=BB39_4 Depth=1
	s_or_b32 exec_lo, exec_lo, s50
.LBB39_62:                              ;   in Loop: Header=BB39_4 Depth=1
	s_mov_b32 s48, 0
.LBB39_63:                              ;   in Loop: Header=BB39_4 Depth=1
	s_andn2_b32 vcc_lo, exec_lo, s48
	s_cbranch_vccnz .LBB39_70
; %bb.64:                               ;   in Loop: Header=BB39_4 Depth=1
	s_and_saveexec_b32 s50, s1
	s_cbranch_execz .LBB39_69
; %bb.65:                               ;   in Loop: Header=BB39_4 Depth=1
	v_add_co_u32 v5, vcc_lo, v28, s84
	v_add_co_ci_u32_e64 v6, null, s83, v29, vcc_lo
	s_lshl_b64 s[46:47], s[26:27], 4
	v_mov_b32_e32 v11, v4
	s_add_u32 s51, s81, s46
	s_addc_u32 s52, s82, s47
	s_mov_b32 s53, 0
	s_branch .LBB39_67
.LBB39_66:                              ;   in Loop: Header=BB39_67 Depth=2
	v_add_nc_u32_e32 v11, s24, v11
	v_add_co_u32 v5, s2, v5, s38
	v_add_co_ci_u32_e64 v6, null, s39, v6, s2
	v_cmp_le_i32_e32 vcc_lo, s56, v11
	s_waitcnt vmcnt(0)
	global_store_dwordx4 v[7:8], v[0:3], off offset:-16
	s_or_b32 s53, vcc_lo, s53
	s_andn2_b32 exec_lo, exec_lo, s53
	s_cbranch_execz .LBB39_69
.LBB39_67:                              ;   Parent Loop BB39_4 Depth=1
                                        ; =>  This Loop Header: Depth=2
                                        ;       Child Loop BB39_68 Depth 3
	v_mad_i64_i32 v[0:1], null, v11, s20, 0
	v_mov_b32_e32 v10, v6
	v_mov_b32_e32 v9, v5
	s_mov_b64 s[46:47], s[44:45]
	s_mov_b64 s[48:49], s[42:43]
	s_mov_b32 s2, s4
	v_lshlrev_b64 v[0:1], 4, v[0:1]
	v_add_co_u32 v7, vcc_lo, s51, v0
	v_add_co_ci_u32_e64 v8, null, s52, v1, vcc_lo
	s_andn2_b32 vcc_lo, exec_lo, s71
	global_load_dwordx4 v[0:3], v[7:8], off offset:-16
	s_cbranch_vccnz .LBB39_66
	.p2align	6
.LBB39_68:                              ;   Parent Loop BB39_4 Depth=1
                                        ;     Parent Loop BB39_67 Depth=2
                                        ; =>    This Inner Loop Header: Depth=3
	global_load_dwordx4 v[12:15], v[9:10], off offset:-8
	s_clause 0x1
	global_load_dwordx2 v[39:40], v38, s[48:49]
	global_load_dwordx2 v[41:42], v38, s[46:47]
	s_add_i32 s2, s2, -1
	s_add_u32 s48, s48, -8
	s_addc_u32 s49, s49, -1
	s_add_u32 s46, s46, -8
	s_addc_u32 s47, s47, -1
	s_cmp_eq_u32 s2, 0
	s_waitcnt vmcnt(1)
	v_mul_f64 v[43:44], v[39:40], v[12:13]
	v_mul_f64 v[45:46], v[39:40], v[14:15]
	s_waitcnt vmcnt(0)
	v_mul_f64 v[47:48], v[41:42], v[12:13]
	v_mul_f64 v[49:50], v[41:42], v[14:15]
	v_fma_f64 v[12:13], v[0:1], v[41:42], v[43:44]
	v_fma_f64 v[14:15], v[2:3], v[41:42], v[45:46]
	v_fma_f64 v[0:1], v[0:1], v[39:40], -v[47:48]
	v_fma_f64 v[2:3], v[2:3], v[39:40], -v[49:50]
	global_store_dwordx4 v[9:10], v[12:15], off offset:-8
	v_add_co_u32 v9, vcc_lo, v9, -16
	v_add_co_ci_u32_e64 v10, null, -1, v10, vcc_lo
	s_cbranch_scc0 .LBB39_68
	s_branch .LBB39_66
.LBB39_69:                              ;   in Loop: Header=BB39_4 Depth=1
	s_or_b32 exec_lo, exec_lo, s50
.LBB39_70:                              ;   in Loop: Header=BB39_4 Depth=1
	s_mov_b32 s48, 0
.LBB39_71:                              ;   in Loop: Header=BB39_4 Depth=1
	s_andn2_b32 vcc_lo, exec_lo, s48
	s_cbranch_vccnz .LBB39_78
; %bb.72:                               ;   in Loop: Header=BB39_4 Depth=1
	s_and_saveexec_b32 s50, s1
	s_cbranch_execz .LBB39_77
; %bb.73:                               ;   in Loop: Header=BB39_4 Depth=1
	v_add_co_u32 v5, vcc_lo, v30, s84
	v_add_co_ci_u32_e64 v6, null, s83, v31, vcc_lo
	s_lshl_b64 s[46:47], s[26:27], 4
	v_mov_b32_e32 v11, v4
	s_add_u32 s51, s81, s46
	s_addc_u32 s52, s82, s47
	s_mov_b32 s53, 0
	s_branch .LBB39_75
.LBB39_74:                              ;   in Loop: Header=BB39_75 Depth=2
	v_add_nc_u32_e32 v11, s24, v11
	v_add_co_u32 v5, s2, v5, s38
	v_add_co_ci_u32_e64 v6, null, s39, v6, s2
	v_cmp_le_i32_e32 vcc_lo, s56, v11
	s_waitcnt vmcnt(0)
	global_store_dwordx4 v[7:8], v[0:3], off offset:-16
	s_or_b32 s53, vcc_lo, s53
	s_andn2_b32 exec_lo, exec_lo, s53
	s_cbranch_execz .LBB39_77
.LBB39_75:                              ;   Parent Loop BB39_4 Depth=1
                                        ; =>  This Loop Header: Depth=2
                                        ;       Child Loop BB39_76 Depth 3
	v_mad_i64_i32 v[0:1], null, v11, s20, 0
	v_mov_b32_e32 v10, v6
	v_mov_b32_e32 v9, v5
	s_mov_b64 s[46:47], s[16:17]
	s_mov_b64 s[48:49], s[40:41]
	s_mov_b32 s2, s4
	v_lshlrev_b64 v[0:1], 4, v[0:1]
	v_add_co_u32 v7, vcc_lo, s51, v0
	v_add_co_ci_u32_e64 v8, null, s52, v1, vcc_lo
	s_andn2_b32 vcc_lo, exec_lo, s71
	global_load_dwordx4 v[0:3], v[7:8], off offset:-16
	s_cbranch_vccnz .LBB39_74
	.p2align	6
.LBB39_76:                              ;   Parent Loop BB39_4 Depth=1
                                        ;     Parent Loop BB39_75 Depth=2
                                        ; =>    This Inner Loop Header: Depth=3
	global_load_dwordx4 v[12:15], v[9:10], off offset:-8
	s_clause 0x1
	global_load_dwordx2 v[39:40], v38, s[48:49]
	global_load_dwordx2 v[41:42], v38, s[46:47]
	s_add_i32 s2, s2, -1
	s_add_u32 s48, s48, 8
	s_addc_u32 s49, s49, 0
	s_add_u32 s46, s46, 8
	s_addc_u32 s47, s47, 0
	s_cmp_eq_u32 s2, 0
	s_waitcnt vmcnt(1)
	v_mul_f64 v[43:44], v[39:40], v[12:13]
	v_mul_f64 v[45:46], v[39:40], v[14:15]
	s_waitcnt vmcnt(0)
	v_mul_f64 v[47:48], v[41:42], v[12:13]
	v_mul_f64 v[49:50], v[41:42], v[14:15]
	v_fma_f64 v[12:13], v[0:1], v[41:42], v[43:44]
	v_fma_f64 v[14:15], v[2:3], v[41:42], v[45:46]
	v_fma_f64 v[0:1], v[0:1], v[39:40], -v[47:48]
	v_fma_f64 v[2:3], v[2:3], v[39:40], -v[49:50]
	global_store_dwordx4 v[9:10], v[12:15], off offset:-8
	v_add_co_u32 v9, vcc_lo, v9, 16
	v_add_co_ci_u32_e64 v10, null, 0, v10, vcc_lo
	s_cbranch_scc0 .LBB39_76
	s_branch .LBB39_74
.LBB39_77:                              ;   in Loop: Header=BB39_4 Depth=1
	s_or_b32 exec_lo, exec_lo, s50
.LBB39_78:                              ;   in Loop: Header=BB39_4 Depth=1
	s_mov_b32 s48, 0
.LBB39_79:                              ;   in Loop: Header=BB39_4 Depth=1
	s_andn2_b32 vcc_lo, exec_lo, s48
	s_cbranch_vccnz .LBB39_86
; %bb.80:                               ;   in Loop: Header=BB39_4 Depth=1
	s_and_saveexec_b32 s50, s1
	s_cbranch_execz .LBB39_85
; %bb.81:                               ;   in Loop: Header=BB39_4 Depth=1
	v_add_co_u32 v5, vcc_lo, v32, s84
	v_add_co_ci_u32_e64 v6, null, s83, v33, vcc_lo
	v_mov_b32_e32 v11, v4
	s_mov_b32 s51, 0
	s_branch .LBB39_83
.LBB39_82:                              ;   in Loop: Header=BB39_83 Depth=2
	v_add_nc_u32_e32 v11, s24, v11
	v_add_co_u32 v5, s2, v5, s38
	v_add_co_ci_u32_e64 v6, null, s39, v6, s2
	v_cmp_le_i32_e32 vcc_lo, s56, v11
	s_waitcnt vmcnt(0)
	global_store_dwordx4 v[7:8], v[0:3], off
	s_or_b32 s51, vcc_lo, s51
	s_andn2_b32 exec_lo, exec_lo, s51
	s_cbranch_execz .LBB39_85
.LBB39_83:                              ;   Parent Loop BB39_4 Depth=1
                                        ; =>  This Loop Header: Depth=2
                                        ;       Child Loop BB39_84 Depth 3
	v_mad_i64_i32 v[0:1], null, v11, s20, 0
	v_mov_b32_e32 v10, v6
	v_mov_b32_e32 v9, v5
	s_mov_b64 s[46:47], s[44:45]
	s_mov_b64 s[48:49], s[42:43]
	s_mov_b32 s2, s5
	v_lshlrev_b64 v[0:1], 4, v[0:1]
	v_add_co_u32 v7, vcc_lo, s81, v0
	v_add_co_ci_u32_e64 v8, null, s82, v1, vcc_lo
	s_andn2_b32 vcc_lo, exec_lo, s71
	global_load_dwordx4 v[0:3], v[7:8], off
	s_cbranch_vccnz .LBB39_82
	.p2align	6
.LBB39_84:                              ;   Parent Loop BB39_4 Depth=1
                                        ;     Parent Loop BB39_83 Depth=2
                                        ; =>    This Inner Loop Header: Depth=3
	s_clause 0x1
	global_load_dwordx2 v[39:40], v38, s[46:47]
	global_load_dwordx2 v[41:42], v38, s[48:49]
	global_load_dwordx4 v[12:15], v[9:10], off offset:-8
	s_add_i32 s2, s2, -1
	s_add_u32 s48, s48, -8
	s_addc_u32 s49, s49, -1
	s_add_u32 s46, s46, -8
	s_addc_u32 s47, s47, -1
	s_cmp_lt_u32 s2, 3
	s_waitcnt vmcnt(2)
	v_mul_f64 v[43:44], v[0:1], v[39:40]
	v_mul_f64 v[45:46], v[2:3], v[39:40]
	s_waitcnt vmcnt(0)
	v_mul_f64 v[47:48], v[39:40], v[12:13]
	v_mul_f64 v[39:40], v[39:40], v[14:15]
	v_fma_f64 v[12:13], v[41:42], v[12:13], -v[43:44]
	v_fma_f64 v[14:15], v[41:42], v[14:15], -v[45:46]
	v_fma_f64 v[0:1], v[0:1], v[41:42], v[47:48]
	v_fma_f64 v[2:3], v[2:3], v[41:42], v[39:40]
	global_store_dwordx4 v[9:10], v[12:15], off offset:-8
	v_add_co_u32 v9, vcc_lo, v9, -16
	v_add_co_ci_u32_e64 v10, null, -1, v10, vcc_lo
	s_cbranch_scc0 .LBB39_84
	s_branch .LBB39_82
.LBB39_85:                              ;   in Loop: Header=BB39_4 Depth=1
	s_or_b32 exec_lo, exec_lo, s50
.LBB39_86:                              ;   in Loop: Header=BB39_4 Depth=1
	s_mov_b32 s48, 0
.LBB39_87:                              ;   in Loop: Header=BB39_4 Depth=1
	s_andn2_b32 vcc_lo, exec_lo, s48
	s_cbranch_vccnz .LBB39_94
; %bb.88:                               ;   in Loop: Header=BB39_4 Depth=1
	s_and_saveexec_b32 s50, s1
	s_cbranch_execz .LBB39_93
; %bb.89:                               ;   in Loop: Header=BB39_4 Depth=1
	v_add_co_u32 v5, vcc_lo, v34, s84
	v_add_co_ci_u32_e64 v6, null, s83, v35, vcc_lo
	v_mov_b32_e32 v11, v4
	s_mov_b32 s51, 0
	s_branch .LBB39_91
.LBB39_90:                              ;   in Loop: Header=BB39_91 Depth=2
	v_add_nc_u32_e32 v11, s24, v11
	v_add_co_u32 v5, s2, v5, s38
	v_add_co_ci_u32_e64 v6, null, s39, v6, s2
	v_cmp_le_i32_e32 vcc_lo, s56, v11
	s_waitcnt vmcnt(0)
	global_store_dwordx4 v[7:8], v[0:3], off
	s_or_b32 s51, vcc_lo, s51
	s_andn2_b32 exec_lo, exec_lo, s51
	s_cbranch_execz .LBB39_93
.LBB39_91:                              ;   Parent Loop BB39_4 Depth=1
                                        ; =>  This Loop Header: Depth=2
                                        ;       Child Loop BB39_92 Depth 3
	v_mad_i64_i32 v[0:1], null, v11, s20, 0
	v_mov_b32_e32 v10, v6
	v_mov_b32_e32 v9, v5
	s_mov_b32 s2, s4
	s_mov_b64 s[46:47], s[40:41]
	s_mov_b64 s[48:49], s[16:17]
	v_lshlrev_b64 v[0:1], 4, v[0:1]
	v_add_co_u32 v7, vcc_lo, s81, v0
	v_add_co_ci_u32_e64 v8, null, s82, v1, vcc_lo
	s_andn2_b32 vcc_lo, exec_lo, s71
	global_load_dwordx4 v[0:3], v[7:8], off
	s_cbranch_vccnz .LBB39_90
	.p2align	6
.LBB39_92:                              ;   Parent Loop BB39_4 Depth=1
                                        ;     Parent Loop BB39_91 Depth=2
                                        ; =>    This Inner Loop Header: Depth=3
	s_clause 0x1
	global_load_dwordx2 v[39:40], v38, s[48:49]
	global_load_dwordx2 v[41:42], v38, s[46:47]
	global_load_dwordx4 v[12:15], v[9:10], off
	s_add_u32 s48, s48, 8
	s_addc_u32 s49, s49, 0
	s_add_u32 s46, s46, 8
	s_addc_u32 s47, s47, 0
	s_add_i32 s2, s2, -1
	s_cmp_eq_u32 s2, 0
	s_waitcnt vmcnt(2)
	v_mul_f64 v[43:44], v[0:1], v[39:40]
	v_mul_f64 v[45:46], v[2:3], v[39:40]
	s_waitcnt vmcnt(0)
	v_mul_f64 v[47:48], v[39:40], v[12:13]
	v_mul_f64 v[39:40], v[39:40], v[14:15]
	v_fma_f64 v[12:13], v[41:42], v[12:13], -v[43:44]
	v_fma_f64 v[14:15], v[41:42], v[14:15], -v[45:46]
	v_fma_f64 v[0:1], v[0:1], v[41:42], v[47:48]
	v_fma_f64 v[2:3], v[2:3], v[41:42], v[39:40]
	global_store_dwordx4 v[9:10], v[12:15], off
	v_add_co_u32 v9, vcc_lo, v9, 16
	v_add_co_ci_u32_e64 v10, null, 0, v10, vcc_lo
	s_cbranch_scc0 .LBB39_92
	s_branch .LBB39_90
.LBB39_93:                              ;   in Loop: Header=BB39_4 Depth=1
	s_or_b32 exec_lo, exec_lo, s50
.LBB39_94:                              ;   in Loop: Header=BB39_4 Depth=1
	s_mov_b32 s48, 0
.LBB39_95:                              ;   in Loop: Header=BB39_4 Depth=1
	s_andn2_b32 vcc_lo, exec_lo, s48
	s_cbranch_vccnz .LBB39_102
; %bb.96:                               ;   in Loop: Header=BB39_4 Depth=1
	s_and_saveexec_b32 s50, s1
	s_cbranch_execz .LBB39_101
; %bb.97:                               ;   in Loop: Header=BB39_4 Depth=1
	v_add_co_u32 v5, vcc_lo, v26, s84
	v_add_co_ci_u32_e64 v6, null, s83, v27, vcc_lo
	s_lshl_b64 s[46:47], s[26:27], 4
	v_mov_b32_e32 v11, v4
	s_add_u32 s51, s81, s46
	s_addc_u32 s52, s82, s47
	s_mov_b32 s53, 0
	s_branch .LBB39_99
.LBB39_98:                              ;   in Loop: Header=BB39_99 Depth=2
	v_add_nc_u32_e32 v11, s24, v11
	v_add_co_u32 v7, vcc_lo, s81, v7
	v_add_co_ci_u32_e64 v8, null, s82, v8, vcc_lo
	v_cmp_le_i32_e32 vcc_lo, s56, v11
	v_add_co_u32 v5, s2, v5, s38
	v_add_co_ci_u32_e64 v6, null, s39, v6, s2
	s_or_b32 s53, vcc_lo, s53
	s_waitcnt vmcnt(0)
	global_store_dwordx4 v[7:8], v[0:3], off
	s_andn2_b32 exec_lo, exec_lo, s53
	s_cbranch_execz .LBB39_101
.LBB39_99:                              ;   Parent Loop BB39_4 Depth=1
                                        ; =>  This Loop Header: Depth=2
                                        ;       Child Loop BB39_100 Depth 3
	v_mad_i64_i32 v[0:1], null, v11, s20, 0
	v_mov_b32_e32 v10, v6
	v_mov_b32_e32 v9, v5
	s_mov_b64 s[46:47], s[44:45]
	s_mov_b64 s[48:49], s[42:43]
	s_mov_b32 s2, s4
	v_lshlrev_b64 v[7:8], 4, v[0:1]
	v_add_co_u32 v0, vcc_lo, s51, v7
	v_add_co_ci_u32_e64 v1, null, s52, v8, vcc_lo
	s_andn2_b32 vcc_lo, exec_lo, s71
	global_load_dwordx4 v[0:3], v[0:1], off offset:-16
	s_cbranch_vccnz .LBB39_98
	.p2align	6
.LBB39_100:                             ;   Parent Loop BB39_4 Depth=1
                                        ;     Parent Loop BB39_99 Depth=2
                                        ; =>    This Inner Loop Header: Depth=3
	global_load_dwordx4 v[12:15], v[9:10], off
	s_clause 0x1
	global_load_dwordx2 v[39:40], v38, s[46:47]
	global_load_dwordx2 v[41:42], v38, s[48:49]
	s_add_i32 s2, s2, -1
	s_add_u32 s48, s48, -8
	s_addc_u32 s49, s49, -1
	s_add_u32 s46, s46, -8
	s_addc_u32 s47, s47, -1
	s_cmp_eq_u32 s2, 0
	s_waitcnt vmcnt(1)
	v_mul_f64 v[43:44], v[39:40], v[12:13]
	v_mul_f64 v[45:46], v[39:40], v[14:15]
	s_waitcnt vmcnt(0)
	v_mul_f64 v[47:48], v[41:42], v[12:13]
	v_mul_f64 v[49:50], v[41:42], v[14:15]
	v_fma_f64 v[12:13], v[0:1], v[41:42], -v[43:44]
	v_fma_f64 v[14:15], v[2:3], v[41:42], -v[45:46]
	v_fma_f64 v[0:1], v[0:1], v[39:40], v[47:48]
	v_fma_f64 v[2:3], v[2:3], v[39:40], v[49:50]
	global_store_dwordx4 v[9:10], v[12:15], off offset:16
	v_add_co_u32 v9, vcc_lo, v9, -16
	v_add_co_ci_u32_e64 v10, null, -1, v10, vcc_lo
	s_cbranch_scc0 .LBB39_100
	s_branch .LBB39_98
.LBB39_101:                             ;   in Loop: Header=BB39_4 Depth=1
	s_or_b32 exec_lo, exec_lo, s50
.LBB39_102:                             ;   in Loop: Header=BB39_4 Depth=1
	s_cbranch_execnz .LBB39_3
.LBB39_103:                             ;   in Loop: Header=BB39_4 Depth=1
	s_and_saveexec_b32 s46, s1
	s_cbranch_execz .LBB39_2
; %bb.104:                              ;   in Loop: Header=BB39_4 Depth=1
	v_add_co_u32 v5, vcc_lo, v36, s84
	v_add_co_ci_u32_e64 v6, null, s83, v37, vcc_lo
	s_lshl_b64 s[42:43], s[26:27], 4
	v_mov_b32_e32 v11, v4
	s_add_u32 s47, s81, s42
	s_addc_u32 s48, s82, s43
	s_mov_b32 s49, 0
	s_branch .LBB39_106
.LBB39_105:                             ;   in Loop: Header=BB39_106 Depth=2
	v_add_nc_u32_e32 v11, s24, v11
	v_add_co_u32 v7, vcc_lo, s47, v7
	v_add_co_ci_u32_e64 v8, null, s48, v8, vcc_lo
	v_cmp_le_i32_e32 vcc_lo, s56, v11
	v_add_co_u32 v5, s2, v5, s38
	v_add_co_ci_u32_e64 v6, null, s39, v6, s2
	s_or_b32 s49, vcc_lo, s49
	s_waitcnt vmcnt(0)
	global_store_dwordx4 v[7:8], v[0:3], off offset:-16
	s_andn2_b32 exec_lo, exec_lo, s49
	s_cbranch_execz .LBB39_2
.LBB39_106:                             ;   Parent Loop BB39_4 Depth=1
                                        ; =>  This Loop Header: Depth=2
                                        ;       Child Loop BB39_107 Depth 3
	v_mad_i64_i32 v[0:1], null, v11, s20, 0
	v_mov_b32_e32 v10, v6
	v_mov_b32_e32 v9, v5
	s_mov_b64 s[42:43], s[40:41]
	s_mov_b64 s[44:45], s[16:17]
	s_mov_b32 s2, s4
	v_lshlrev_b64 v[7:8], 4, v[0:1]
	v_add_co_u32 v0, vcc_lo, s81, v7
	v_add_co_ci_u32_e64 v1, null, s82, v8, vcc_lo
	s_andn2_b32 vcc_lo, exec_lo, s71
	global_load_dwordx4 v[0:3], v[0:1], off
	s_cbranch_vccnz .LBB39_105
	.p2align	6
.LBB39_107:                             ;   Parent Loop BB39_4 Depth=1
                                        ;     Parent Loop BB39_106 Depth=2
                                        ; =>    This Inner Loop Header: Depth=3
	global_load_dwordx4 v[12:15], v[9:10], off offset:-8
	s_clause 0x1
	global_load_dwordx2 v[39:40], v38, s[44:45]
	global_load_dwordx2 v[43:44], v38, s[42:43]
	s_add_i32 s2, s2, -1
	s_add_u32 s44, s44, 8
	s_addc_u32 s45, s45, 0
	s_add_u32 s42, s42, 8
	s_addc_u32 s43, s43, 0
	s_cmp_eq_u32 s2, 0
	s_waitcnt vmcnt(1)
	v_mul_f64 v[41:42], v[39:40], v[12:13]
	v_mul_f64 v[45:46], v[39:40], v[14:15]
	;; [unrolled: 1-line block ×4, first 2 shown]
	s_waitcnt vmcnt(0)
	v_fma_f64 v[39:40], v[0:1], v[43:44], v[41:42]
	v_fma_f64 v[41:42], v[2:3], v[43:44], v[45:46]
	v_fma_f64 v[0:1], v[43:44], v[12:13], -v[47:48]
	v_fma_f64 v[2:3], v[43:44], v[14:15], -v[49:50]
	global_store_dwordx4 v[9:10], v[39:42], off offset:-24
	v_add_co_u32 v9, vcc_lo, v9, 16
	v_add_co_ci_u32_e64 v10, null, 0, v10, vcc_lo
	s_cbranch_scc0 .LBB39_107
	s_branch .LBB39_105
.LBB39_108:
	s_endpgm
	.section	.rodata,"a",@progbits
	.p2align	6, 0x0
	.amdhsa_kernel _ZN9rocsolver6v33100L11lasr_kernelI19rocblas_complex_numIdEdPS3_iEEv13rocblas_side_14rocblas_pivot_15rocblas_direct_T2_S8_PT0_lSA_lT1_lS8_lS8_
		.amdhsa_group_segment_fixed_size 0
		.amdhsa_private_segment_fixed_size 0
		.amdhsa_kernarg_size 352
		.amdhsa_user_sgpr_count 6
		.amdhsa_user_sgpr_private_segment_buffer 1
		.amdhsa_user_sgpr_dispatch_ptr 0
		.amdhsa_user_sgpr_queue_ptr 0
		.amdhsa_user_sgpr_kernarg_segment_ptr 1
		.amdhsa_user_sgpr_dispatch_id 0
		.amdhsa_user_sgpr_flat_scratch_init 0
		.amdhsa_user_sgpr_private_segment_size 0
		.amdhsa_wavefront_size32 1
		.amdhsa_uses_dynamic_stack 0
		.amdhsa_system_sgpr_private_segment_wavefront_offset 0
		.amdhsa_system_sgpr_workgroup_id_x 1
		.amdhsa_system_sgpr_workgroup_id_y 0
		.amdhsa_system_sgpr_workgroup_id_z 1
		.amdhsa_system_sgpr_workgroup_info 0
		.amdhsa_system_vgpr_workitem_id 0
		.amdhsa_next_free_vgpr 55
		.amdhsa_next_free_sgpr 89
		.amdhsa_reserve_vcc 1
		.amdhsa_reserve_flat_scratch 0
		.amdhsa_float_round_mode_32 0
		.amdhsa_float_round_mode_16_64 0
		.amdhsa_float_denorm_mode_32 3
		.amdhsa_float_denorm_mode_16_64 3
		.amdhsa_dx10_clamp 1
		.amdhsa_ieee_mode 1
		.amdhsa_fp16_overflow 0
		.amdhsa_workgroup_processor_mode 1
		.amdhsa_memory_ordered 1
		.amdhsa_forward_progress 1
		.amdhsa_shared_vgpr_count 0
		.amdhsa_exception_fp_ieee_invalid_op 0
		.amdhsa_exception_fp_denorm_src 0
		.amdhsa_exception_fp_ieee_div_zero 0
		.amdhsa_exception_fp_ieee_overflow 0
		.amdhsa_exception_fp_ieee_underflow 0
		.amdhsa_exception_fp_ieee_inexact 0
		.amdhsa_exception_int_div_zero 0
	.end_amdhsa_kernel
	.section	.text._ZN9rocsolver6v33100L11lasr_kernelI19rocblas_complex_numIdEdPS3_iEEv13rocblas_side_14rocblas_pivot_15rocblas_direct_T2_S8_PT0_lSA_lT1_lS8_lS8_,"axG",@progbits,_ZN9rocsolver6v33100L11lasr_kernelI19rocblas_complex_numIdEdPS3_iEEv13rocblas_side_14rocblas_pivot_15rocblas_direct_T2_S8_PT0_lSA_lT1_lS8_lS8_,comdat
.Lfunc_end39:
	.size	_ZN9rocsolver6v33100L11lasr_kernelI19rocblas_complex_numIdEdPS3_iEEv13rocblas_side_14rocblas_pivot_15rocblas_direct_T2_S8_PT0_lSA_lT1_lS8_lS8_, .Lfunc_end39-_ZN9rocsolver6v33100L11lasr_kernelI19rocblas_complex_numIdEdPS3_iEEv13rocblas_side_14rocblas_pivot_15rocblas_direct_T2_S8_PT0_lSA_lT1_lS8_lS8_
                                        ; -- End function
	.set _ZN9rocsolver6v33100L11lasr_kernelI19rocblas_complex_numIdEdPS3_iEEv13rocblas_side_14rocblas_pivot_15rocblas_direct_T2_S8_PT0_lSA_lT1_lS8_lS8_.num_vgpr, 55
	.set _ZN9rocsolver6v33100L11lasr_kernelI19rocblas_complex_numIdEdPS3_iEEv13rocblas_side_14rocblas_pivot_15rocblas_direct_T2_S8_PT0_lSA_lT1_lS8_lS8_.num_agpr, 0
	.set _ZN9rocsolver6v33100L11lasr_kernelI19rocblas_complex_numIdEdPS3_iEEv13rocblas_side_14rocblas_pivot_15rocblas_direct_T2_S8_PT0_lSA_lT1_lS8_lS8_.numbered_sgpr, 89
	.set _ZN9rocsolver6v33100L11lasr_kernelI19rocblas_complex_numIdEdPS3_iEEv13rocblas_side_14rocblas_pivot_15rocblas_direct_T2_S8_PT0_lSA_lT1_lS8_lS8_.num_named_barrier, 0
	.set _ZN9rocsolver6v33100L11lasr_kernelI19rocblas_complex_numIdEdPS3_iEEv13rocblas_side_14rocblas_pivot_15rocblas_direct_T2_S8_PT0_lSA_lT1_lS8_lS8_.private_seg_size, 0
	.set _ZN9rocsolver6v33100L11lasr_kernelI19rocblas_complex_numIdEdPS3_iEEv13rocblas_side_14rocblas_pivot_15rocblas_direct_T2_S8_PT0_lSA_lT1_lS8_lS8_.uses_vcc, 1
	.set _ZN9rocsolver6v33100L11lasr_kernelI19rocblas_complex_numIdEdPS3_iEEv13rocblas_side_14rocblas_pivot_15rocblas_direct_T2_S8_PT0_lSA_lT1_lS8_lS8_.uses_flat_scratch, 0
	.set _ZN9rocsolver6v33100L11lasr_kernelI19rocblas_complex_numIdEdPS3_iEEv13rocblas_side_14rocblas_pivot_15rocblas_direct_T2_S8_PT0_lSA_lT1_lS8_lS8_.has_dyn_sized_stack, 0
	.set _ZN9rocsolver6v33100L11lasr_kernelI19rocblas_complex_numIdEdPS3_iEEv13rocblas_side_14rocblas_pivot_15rocblas_direct_T2_S8_PT0_lSA_lT1_lS8_lS8_.has_recursion, 0
	.set _ZN9rocsolver6v33100L11lasr_kernelI19rocblas_complex_numIdEdPS3_iEEv13rocblas_side_14rocblas_pivot_15rocblas_direct_T2_S8_PT0_lSA_lT1_lS8_lS8_.has_indirect_call, 0
	.section	.AMDGPU.csdata,"",@progbits
; Kernel info:
; codeLenInByte = 5600
; TotalNumSgprs: 91
; NumVgprs: 55
; ScratchSize: 0
; MemoryBound: 0
; FloatMode: 240
; IeeeMode: 1
; LDSByteSize: 0 bytes/workgroup (compile time only)
; SGPRBlocks: 0
; VGPRBlocks: 6
; NumSGPRsForWavesPerEU: 91
; NumVGPRsForWavesPerEU: 55
; Occupancy: 16
; WaveLimiterHint : 0
; COMPUTE_PGM_RSRC2:SCRATCH_EN: 0
; COMPUTE_PGM_RSRC2:USER_SGPR: 6
; COMPUTE_PGM_RSRC2:TRAP_HANDLER: 0
; COMPUTE_PGM_RSRC2:TGID_X_EN: 1
; COMPUTE_PGM_RSRC2:TGID_Y_EN: 0
; COMPUTE_PGM_RSRC2:TGID_Z_EN: 1
; COMPUTE_PGM_RSRC2:TIDIG_COMP_CNT: 0
	.section	.text._ZN9rocsolver6v33100L11scal_kernelId19rocblas_complex_numIdEiEEvT1_T_PT0_S4_,"axG",@progbits,_ZN9rocsolver6v33100L11scal_kernelId19rocblas_complex_numIdEiEEvT1_T_PT0_S4_,comdat
	.globl	_ZN9rocsolver6v33100L11scal_kernelId19rocblas_complex_numIdEiEEvT1_T_PT0_S4_ ; -- Begin function _ZN9rocsolver6v33100L11scal_kernelId19rocblas_complex_numIdEiEEvT1_T_PT0_S4_
	.p2align	8
	.type	_ZN9rocsolver6v33100L11scal_kernelId19rocblas_complex_numIdEiEEvT1_T_PT0_S4_,@function
_ZN9rocsolver6v33100L11scal_kernelId19rocblas_complex_numIdEiEEvT1_T_PT0_S4_: ; @_ZN9rocsolver6v33100L11scal_kernelId19rocblas_complex_numIdEiEEvT1_T_PT0_S4_
; %bb.0:
	s_load_dword s7, s[4:5], 0x0
	s_waitcnt lgkmcnt(0)
	s_cmp_lt_i32 s7, 1
	s_cbranch_scc1 .LBB40_10
; %bb.1:
	s_clause 0x3
	s_load_dword s0, s[4:5], 0x2c
	s_load_dword s2, s[4:5], 0x20
	;; [unrolled: 1-line block ×3, first 2 shown]
	s_load_dwordx4 s[8:11], s[4:5], 0x8
	s_waitcnt lgkmcnt(0)
	s_and_b32 s3, s0, 0xffff
	v_mad_u64_u32 v[0:1], null, s6, s3, v[0:1]
	s_mul_i32 s2, s2, s3
	s_cmp_eq_u32 s1, 1
	s_mov_b32 s3, -1
	v_cmp_gt_i32_e64 s0, s7, v0
	s_cbranch_scc1 .LBB40_6
; %bb.2:
	s_and_saveexec_b32 s3, s0
	s_cbranch_execz .LBB40_5
; %bb.3:
	v_mad_i64_i32 v[1:2], null, s1, v0, 0
	v_mov_b32_e32 v3, v0
	s_mul_hi_i32 s5, s1, s2
	s_mul_i32 s4, s1, s2
	s_mov_b32 s6, 0
	s_lshl_b64 s[4:5], s[4:5], 4
	v_lshlrev_b64 v[1:2], 4, v[1:2]
	v_add_co_u32 v1, vcc_lo, s10, v1
	v_add_co_ci_u32_e64 v2, null, s11, v2, vcc_lo
	v_add_co_u32 v1, vcc_lo, v1, 8
	v_add_co_ci_u32_e64 v2, null, 0, v2, vcc_lo
	.p2align	6
.LBB40_4:                               ; =>This Inner Loop Header: Depth=1
	global_load_dwordx4 v[4:7], v[1:2], off offset:-8
	v_add_nc_u32_e32 v3, s2, v3
	v_cmp_le_i32_e32 vcc_lo, s7, v3
	s_or_b32 s6, vcc_lo, s6
	s_waitcnt vmcnt(0)
	v_mul_f64 v[4:5], s[8:9], v[4:5]
	v_mul_f64 v[6:7], s[8:9], v[6:7]
	global_store_dwordx4 v[1:2], v[4:7], off offset:-8
	v_add_co_u32 v1, s1, v1, s4
	v_add_co_ci_u32_e64 v2, null, s5, v2, s1
	s_andn2_b32 exec_lo, exec_lo, s6
	s_cbranch_execnz .LBB40_4
.LBB40_5:
	s_or_b32 exec_lo, exec_lo, s3
	s_mov_b32 s3, 0
.LBB40_6:
	s_andn2_b32 vcc_lo, exec_lo, s3
	s_cbranch_vccnz .LBB40_10
; %bb.7:
	s_and_saveexec_b32 s1, s0
	s_cbranch_execz .LBB40_10
; %bb.8:
	v_ashrrev_i32_e32 v1, 31, v0
	s_ashr_i32 s3, s2, 31
	s_mov_b32 s1, 0
	s_lshl_b64 s[4:5], s[2:3], 4
	v_lshlrev_b64 v[1:2], 4, v[0:1]
	v_add_co_u32 v1, vcc_lo, s10, v1
	v_add_co_ci_u32_e64 v2, null, s11, v2, vcc_lo
	v_add_co_u32 v1, vcc_lo, v1, 8
	v_add_co_ci_u32_e64 v2, null, 0, v2, vcc_lo
	.p2align	6
.LBB40_9:                               ; =>This Inner Loop Header: Depth=1
	global_load_dwordx4 v[3:6], v[1:2], off offset:-8
	v_add_nc_u32_e32 v0, s2, v0
	v_cmp_le_i32_e32 vcc_lo, s7, v0
	s_or_b32 s1, vcc_lo, s1
	s_waitcnt vmcnt(0)
	v_mul_f64 v[3:4], s[8:9], v[3:4]
	v_mul_f64 v[5:6], s[8:9], v[5:6]
	global_store_dwordx4 v[1:2], v[3:6], off offset:-8
	v_add_co_u32 v1, s0, v1, s4
	v_add_co_ci_u32_e64 v2, null, s5, v2, s0
	s_andn2_b32 exec_lo, exec_lo, s1
	s_cbranch_execnz .LBB40_9
.LBB40_10:
	s_endpgm
	.section	.rodata,"a",@progbits
	.p2align	6, 0x0
	.amdhsa_kernel _ZN9rocsolver6v33100L11scal_kernelId19rocblas_complex_numIdEiEEvT1_T_PT0_S4_
		.amdhsa_group_segment_fixed_size 0
		.amdhsa_private_segment_fixed_size 0
		.amdhsa_kernarg_size 288
		.amdhsa_user_sgpr_count 6
		.amdhsa_user_sgpr_private_segment_buffer 1
		.amdhsa_user_sgpr_dispatch_ptr 0
		.amdhsa_user_sgpr_queue_ptr 0
		.amdhsa_user_sgpr_kernarg_segment_ptr 1
		.amdhsa_user_sgpr_dispatch_id 0
		.amdhsa_user_sgpr_flat_scratch_init 0
		.amdhsa_user_sgpr_private_segment_size 0
		.amdhsa_wavefront_size32 1
		.amdhsa_uses_dynamic_stack 0
		.amdhsa_system_sgpr_private_segment_wavefront_offset 0
		.amdhsa_system_sgpr_workgroup_id_x 1
		.amdhsa_system_sgpr_workgroup_id_y 0
		.amdhsa_system_sgpr_workgroup_id_z 0
		.amdhsa_system_sgpr_workgroup_info 0
		.amdhsa_system_vgpr_workitem_id 0
		.amdhsa_next_free_vgpr 8
		.amdhsa_next_free_sgpr 12
		.amdhsa_reserve_vcc 1
		.amdhsa_reserve_flat_scratch 0
		.amdhsa_float_round_mode_32 0
		.amdhsa_float_round_mode_16_64 0
		.amdhsa_float_denorm_mode_32 3
		.amdhsa_float_denorm_mode_16_64 3
		.amdhsa_dx10_clamp 1
		.amdhsa_ieee_mode 1
		.amdhsa_fp16_overflow 0
		.amdhsa_workgroup_processor_mode 1
		.amdhsa_memory_ordered 1
		.amdhsa_forward_progress 1
		.amdhsa_shared_vgpr_count 0
		.amdhsa_exception_fp_ieee_invalid_op 0
		.amdhsa_exception_fp_denorm_src 0
		.amdhsa_exception_fp_ieee_div_zero 0
		.amdhsa_exception_fp_ieee_overflow 0
		.amdhsa_exception_fp_ieee_underflow 0
		.amdhsa_exception_fp_ieee_inexact 0
		.amdhsa_exception_int_div_zero 0
	.end_amdhsa_kernel
	.section	.text._ZN9rocsolver6v33100L11scal_kernelId19rocblas_complex_numIdEiEEvT1_T_PT0_S4_,"axG",@progbits,_ZN9rocsolver6v33100L11scal_kernelId19rocblas_complex_numIdEiEEvT1_T_PT0_S4_,comdat
.Lfunc_end40:
	.size	_ZN9rocsolver6v33100L11scal_kernelId19rocblas_complex_numIdEiEEvT1_T_PT0_S4_, .Lfunc_end40-_ZN9rocsolver6v33100L11scal_kernelId19rocblas_complex_numIdEiEEvT1_T_PT0_S4_
                                        ; -- End function
	.set _ZN9rocsolver6v33100L11scal_kernelId19rocblas_complex_numIdEiEEvT1_T_PT0_S4_.num_vgpr, 8
	.set _ZN9rocsolver6v33100L11scal_kernelId19rocblas_complex_numIdEiEEvT1_T_PT0_S4_.num_agpr, 0
	.set _ZN9rocsolver6v33100L11scal_kernelId19rocblas_complex_numIdEiEEvT1_T_PT0_S4_.numbered_sgpr, 12
	.set _ZN9rocsolver6v33100L11scal_kernelId19rocblas_complex_numIdEiEEvT1_T_PT0_S4_.num_named_barrier, 0
	.set _ZN9rocsolver6v33100L11scal_kernelId19rocblas_complex_numIdEiEEvT1_T_PT0_S4_.private_seg_size, 0
	.set _ZN9rocsolver6v33100L11scal_kernelId19rocblas_complex_numIdEiEEvT1_T_PT0_S4_.uses_vcc, 1
	.set _ZN9rocsolver6v33100L11scal_kernelId19rocblas_complex_numIdEiEEvT1_T_PT0_S4_.uses_flat_scratch, 0
	.set _ZN9rocsolver6v33100L11scal_kernelId19rocblas_complex_numIdEiEEvT1_T_PT0_S4_.has_dyn_sized_stack, 0
	.set _ZN9rocsolver6v33100L11scal_kernelId19rocblas_complex_numIdEiEEvT1_T_PT0_S4_.has_recursion, 0
	.set _ZN9rocsolver6v33100L11scal_kernelId19rocblas_complex_numIdEiEEvT1_T_PT0_S4_.has_indirect_call, 0
	.section	.AMDGPU.csdata,"",@progbits
; Kernel info:
; codeLenInByte = 460
; TotalNumSgprs: 14
; NumVgprs: 8
; ScratchSize: 0
; MemoryBound: 0
; FloatMode: 240
; IeeeMode: 1
; LDSByteSize: 0 bytes/workgroup (compile time only)
; SGPRBlocks: 0
; VGPRBlocks: 0
; NumSGPRsForWavesPerEU: 14
; NumVGPRsForWavesPerEU: 8
; Occupancy: 16
; WaveLimiterHint : 0
; COMPUTE_PGM_RSRC2:SCRATCH_EN: 0
; COMPUTE_PGM_RSRC2:USER_SGPR: 6
; COMPUTE_PGM_RSRC2:TRAP_HANDLER: 0
; COMPUTE_PGM_RSRC2:TGID_X_EN: 1
; COMPUTE_PGM_RSRC2:TGID_Y_EN: 0
; COMPUTE_PGM_RSRC2:TGID_Z_EN: 0
; COMPUTE_PGM_RSRC2:TIDIG_COMP_CNT: 0
	.section	.text._ZN9rocsolver6v33100L17bdsqr_lower2upperI19rocblas_complex_numIdEdPS3_S4_EEviiiPT0_lS6_lT1_iilT2_iilPiS6_lS9_,"axG",@progbits,_ZN9rocsolver6v33100L17bdsqr_lower2upperI19rocblas_complex_numIdEdPS3_S4_EEviiiPT0_lS6_lT1_iilT2_iilPiS6_lS9_,comdat
	.globl	_ZN9rocsolver6v33100L17bdsqr_lower2upperI19rocblas_complex_numIdEdPS3_S4_EEviiiPT0_lS6_lT1_iilT2_iilPiS6_lS9_ ; -- Begin function _ZN9rocsolver6v33100L17bdsqr_lower2upperI19rocblas_complex_numIdEdPS3_S4_EEviiiPT0_lS6_lT1_iilT2_iilPiS6_lS9_
	.p2align	8
	.type	_ZN9rocsolver6v33100L17bdsqr_lower2upperI19rocblas_complex_numIdEdPS3_S4_EEviiiPT0_lS6_lT1_iilT2_iilPiS6_lS9_,@function
_ZN9rocsolver6v33100L17bdsqr_lower2upperI19rocblas_complex_numIdEdPS3_S4_EEviiiPT0_lS6_lT1_iilT2_iilPiS6_lS9_: ; @_ZN9rocsolver6v33100L17bdsqr_lower2upperI19rocblas_complex_numIdEdPS3_S4_EEviiiPT0_lS6_lT1_iilT2_iilPiS6_lS9_
; %bb.0:
	s_load_dwordx2 s[0:1], s[4:5], 0x78
	s_mov_b32 s28, s7
	s_ashr_i32 s29, s7, 31
	s_lshl_b64 s[2:3], s[28:29], 2
	s_waitcnt lgkmcnt(0)
	s_add_u32 s0, s0, s2
	s_addc_u32 s1, s1, s3
	s_load_dword s0, s[0:1], 0x8
	s_waitcnt lgkmcnt(0)
	s_cmp_lg_u32 s0, 0
	s_cbranch_scc1 .LBB41_34
; %bb.1:
	s_clause 0x1
	s_load_dwordx8 s[8:15], s[4:5], 0x30
	s_load_dwordx4 s[24:27], s[4:5], 0x68
	s_mov_b64 s[2:3], 0
	s_mov_b64 s[6:7], 0
	s_waitcnt lgkmcnt(0)
	s_cmp_eq_u64 s[8:9], 0
	s_cbranch_scc1 .LBB41_3
; %bb.2:
	s_mul_i32 s0, s12, s29
	s_mul_hi_u32 s1, s12, s28
	s_mul_i32 s6, s13, s28
	s_add_i32 s0, s1, s0
	s_ashr_i32 s7, s10, 31
	s_add_i32 s1, s0, s6
	s_mul_i32 s0, s12, s28
	s_mov_b32 s6, s10
	s_lshl_b64 s[0:1], s[0:1], 4
	s_add_u32 s8, s8, s0
	s_addc_u32 s9, s9, s1
	s_lshl_b64 s[0:1], s[6:7], 4
	s_add_u32 s6, s8, s0
	s_addc_u32 s7, s9, s1
.LBB41_3:
	s_load_dwordx2 s[0:1], s[4:5], 0x50
	s_cmp_eq_u64 s[14:15], 0
	s_cbranch_scc1 .LBB41_5
; %bb.4:
	s_load_dwordx2 s[2:3], s[4:5], 0x58
	s_waitcnt lgkmcnt(0)
	s_mul_i32 s8, s2, s29
	s_mul_hi_u32 s9, s2, s28
	s_mul_i32 s3, s3, s28
	s_add_i32 s8, s9, s8
	s_mul_i32 s2, s2, s28
	s_add_i32 s3, s8, s3
	s_ashr_i32 s9, s0, 31
	s_lshl_b64 s[2:3], s[2:3], 4
	s_mov_b32 s8, s0
	s_add_u32 s0, s14, s2
	s_addc_u32 s10, s15, s3
	s_lshl_b64 s[2:3], s[8:9], 4
	s_add_u32 s2, s0, s2
	s_addc_u32 s3, s10, s3
.LBB41_5:
	s_load_dwordx4 s[20:23], s[4:5], 0x0
	s_waitcnt lgkmcnt(0)
	s_mul_i32 s0, s26, s29
	s_mul_hi_u32 s8, s26, s28
	s_add_i32 s0, s8, s0
	s_mul_i32 s8, s27, s28
	s_add_i32 s9, s0, s8
	s_mul_i32 s8, s26, s28
	s_mov_b32 s0, exec_lo
	v_cmpx_eq_u32_e32 0, v0
	s_cbranch_execz .LBB41_22
; %bb.6:
	s_load_dwordx8 s[12:19], s[4:5], 0x10
	s_waitcnt lgkmcnt(0)
	s_mul_i32 s10, s14, s29
	s_mul_hi_u32 s23, s14, s28
	s_mul_i32 s15, s15, s28
	s_add_i32 s10, s23, s10
	s_mul_i32 s14, s14, s28
	s_add_i32 s15, s10, s15
	s_lshl_b64 s[30:31], s[14:15], 3
	s_add_u32 s14, s12, s30
	s_addc_u32 s15, s13, s31
	s_add_i32 s26, s20, -1
	s_load_dwordx2 s[34:35], s[14:15], 0x0
	s_cmp_lt_i32 s20, 2
	s_waitcnt lgkmcnt(0)
	v_mov_b32_e32 v1, s34
	v_mov_b32_e32 v2, s35
	s_cbranch_scc1 .LBB41_21
; %bb.7:
	s_lshl_b64 s[36:37], s[8:9], 3
	s_mul_i32 s27, s18, s29
	s_mul_hi_u32 s29, s18, s28
	s_add_u32 s10, s24, s36
	s_addc_u32 s23, s25, s37
	s_add_i32 s27, s29, s27
	s_mul_i32 s19, s19, s28
	s_mul_i32 s18, s18, s28
	s_add_i32 s19, s27, s19
	v_mov_b32_e32 v1, s34
	s_lshl_b64 s[18:19], s[18:19], 3
	v_mov_b32_e32 v2, s35
	s_add_u32 s28, s16, s18
	s_addc_u32 s29, s17, s19
	s_or_b32 s16, s22, s21
	s_load_dwordx2 s[36:37], s[28:29], 0x0
	s_cmp_lg_u32 s16, 0
	v_mov_b32_e32 v9, 0
	s_cselect_b32 s27, -1, 0
	s_add_u32 s18, s10, 32
	s_addc_u32 s19, s23, 0
	s_add_u32 s12, s12, s30
	s_addc_u32 s13, s13, s31
	;; [unrolled: 2-line block ×3, first 2 shown]
	s_add_u32 s28, s28, 8
	s_mov_b32 s17, 0
	s_addc_u32 s29, s29, 0
	s_mov_b32 s30, 0
	s_waitcnt lgkmcnt(0)
	v_mov_b32_e32 v3, s36
	v_mov_b32_e32 v4, s37
	s_branch .LBB41_9
.LBB41_8:                               ;   in Loop: Header=BB41_9 Depth=1
	s_waitcnt vmcnt(0)
	v_mul_f64 v[1:2], v[5:6], v[1:2]
	s_add_i32 s30, s30, 1
	s_add_u32 s18, s18, 8
	s_addc_u32 s19, s19, 0
	s_add_u32 s12, s12, 8
	s_addc_u32 s13, s13, 0
	;; [unrolled: 2-line block ×3, first 2 shown]
	s_cmp_lg_u32 s26, s30
	s_cbranch_scc0 .LBB41_21
.LBB41_9:                               ; =>This Inner Loop Header: Depth=1
	v_cmp_eq_f64_e32 vcc_lo, 0, v[3:4]
	s_cbranch_vccnz .LBB41_13
; %bb.10:                               ;   in Loop: Header=BB41_9 Depth=1
	v_cmp_neq_f64_e32 vcc_lo, 0, v[1:2]
	s_cbranch_vccz .LBB41_14
; %bb.11:                               ;   in Loop: Header=BB41_9 Depth=1
	v_cmp_ngt_f64_e64 s16, |v[3:4]|, |v[1:2]|
	s_and_b32 vcc_lo, exec_lo, s16
	s_cbranch_vccz .LBB41_15
; %bb.12:                               ;   in Loop: Header=BB41_9 Depth=1
	v_div_scale_f64 v[5:6], null, v[1:2], v[1:2], -v[3:4]
	v_div_scale_f64 v[12:13], vcc_lo, -v[3:4], v[1:2], -v[3:4]
	v_rcp_f64_e32 v[7:8], v[5:6]
	v_fma_f64 v[10:11], -v[5:6], v[7:8], 1.0
	v_fma_f64 v[7:8], v[7:8], v[10:11], v[7:8]
	v_fma_f64 v[10:11], -v[5:6], v[7:8], 1.0
	v_fma_f64 v[7:8], v[7:8], v[10:11], v[7:8]
	v_mul_f64 v[10:11], v[12:13], v[7:8]
	v_fma_f64 v[5:6], -v[5:6], v[10:11], v[12:13]
	v_div_fmas_f64 v[5:6], v[5:6], v[7:8], v[10:11]
	v_div_fixup_f64 v[7:8], v[5:6], v[1:2], -v[3:4]
	v_fma_f64 v[5:6], v[7:8], v[7:8], 1.0
	v_cmp_gt_f64_e32 vcc_lo, 0x10000000, v[5:6]
	s_and_b32 s16, vcc_lo, exec_lo
	s_cselect_b32 s16, 0x100, 0
	v_ldexp_f64 v[5:6], v[5:6], s16
	s_cselect_b32 s16, 0xffffff80, 0
	v_rsq_f64_e32 v[10:11], v[5:6]
	v_cmp_class_f64_e64 vcc_lo, v[5:6], 0x260
	v_mul_f64 v[12:13], v[5:6], v[10:11]
	v_mul_f64 v[10:11], v[10:11], 0.5
	v_fma_f64 v[14:15], -v[10:11], v[12:13], 0.5
	v_fma_f64 v[12:13], v[12:13], v[14:15], v[12:13]
	v_fma_f64 v[10:11], v[10:11], v[14:15], v[10:11]
	v_fma_f64 v[14:15], -v[12:13], v[12:13], v[5:6]
	v_fma_f64 v[12:13], v[14:15], v[10:11], v[12:13]
	v_fma_f64 v[14:15], -v[12:13], v[12:13], v[5:6]
	v_fma_f64 v[10:11], v[14:15], v[10:11], v[12:13]
	v_ldexp_f64 v[10:11], v[10:11], s16
	v_cndmask_b32_e32 v6, v11, v6, vcc_lo
	v_cndmask_b32_e32 v5, v10, v5, vcc_lo
	v_div_scale_f64 v[10:11], null, v[5:6], v[5:6], 1.0
	v_rcp_f64_e32 v[12:13], v[10:11]
	v_fma_f64 v[14:15], -v[10:11], v[12:13], 1.0
	v_fma_f64 v[12:13], v[12:13], v[14:15], v[12:13]
	v_fma_f64 v[14:15], -v[10:11], v[12:13], 1.0
	v_fma_f64 v[12:13], v[12:13], v[14:15], v[12:13]
	v_div_scale_f64 v[14:15], vcc_lo, 1.0, v[5:6], 1.0
	v_mul_f64 v[16:17], v[14:15], v[12:13]
	v_fma_f64 v[10:11], -v[10:11], v[16:17], v[14:15]
	v_div_fmas_f64 v[10:11], v[10:11], v[12:13], v[16:17]
	v_div_fixup_f64 v[5:6], v[10:11], v[5:6], 1.0
	v_mul_f64 v[7:8], v[7:8], v[5:6]
	s_cbranch_execz .LBB41_16
	s_branch .LBB41_17
.LBB41_13:                              ;   in Loop: Header=BB41_9 Depth=1
	v_mov_b32_e32 v5, 0
	v_mov_b32_e32 v7, 0
	;; [unrolled: 1-line block ×4, first 2 shown]
	s_branch .LBB41_19
.LBB41_14:                              ;   in Loop: Header=BB41_9 Depth=1
	v_xor_b32_e32 v4, 0x80000000, v4
	v_mov_b32_e32 v1, v3
                                        ; implicit-def: $vgpr5_vgpr6
                                        ; implicit-def: $vgpr7_vgpr8
	v_mov_b32_e32 v2, v4
	s_cbranch_execnz .LBB41_18
	s_branch .LBB41_19
.LBB41_15:                              ;   in Loop: Header=BB41_9 Depth=1
                                        ; implicit-def: $vgpr5_vgpr6
                                        ; implicit-def: $vgpr7_vgpr8
.LBB41_16:                              ;   in Loop: Header=BB41_9 Depth=1
	v_div_scale_f64 v[5:6], null, v[3:4], v[3:4], -v[1:2]
	v_div_scale_f64 v[12:13], vcc_lo, -v[1:2], v[3:4], -v[1:2]
	v_rcp_f64_e32 v[7:8], v[5:6]
	v_fma_f64 v[10:11], -v[5:6], v[7:8], 1.0
	v_fma_f64 v[7:8], v[7:8], v[10:11], v[7:8]
	v_fma_f64 v[10:11], -v[5:6], v[7:8], 1.0
	v_fma_f64 v[7:8], v[7:8], v[10:11], v[7:8]
	v_mul_f64 v[10:11], v[12:13], v[7:8]
	v_fma_f64 v[5:6], -v[5:6], v[10:11], v[12:13]
	v_div_fmas_f64 v[5:6], v[5:6], v[7:8], v[10:11]
	v_div_fixup_f64 v[5:6], v[5:6], v[3:4], -v[1:2]
	v_fma_f64 v[7:8], v[5:6], v[5:6], 1.0
	v_cmp_gt_f64_e32 vcc_lo, 0x10000000, v[7:8]
	s_and_b32 s16, vcc_lo, exec_lo
	s_cselect_b32 s16, 0x100, 0
	v_ldexp_f64 v[7:8], v[7:8], s16
	s_cselect_b32 s16, 0xffffff80, 0
	v_rsq_f64_e32 v[10:11], v[7:8]
	v_cmp_class_f64_e64 vcc_lo, v[7:8], 0x260
	v_mul_f64 v[12:13], v[7:8], v[10:11]
	v_mul_f64 v[10:11], v[10:11], 0.5
	v_fma_f64 v[14:15], -v[10:11], v[12:13], 0.5
	v_fma_f64 v[12:13], v[12:13], v[14:15], v[12:13]
	v_fma_f64 v[10:11], v[10:11], v[14:15], v[10:11]
	v_fma_f64 v[14:15], -v[12:13], v[12:13], v[7:8]
	v_fma_f64 v[12:13], v[14:15], v[10:11], v[12:13]
	v_fma_f64 v[14:15], -v[12:13], v[12:13], v[7:8]
	v_fma_f64 v[10:11], v[14:15], v[10:11], v[12:13]
	v_ldexp_f64 v[10:11], v[10:11], s16
	v_cndmask_b32_e32 v8, v11, v8, vcc_lo
	v_cndmask_b32_e32 v7, v10, v7, vcc_lo
	v_div_scale_f64 v[10:11], null, v[7:8], v[7:8], 1.0
	v_rcp_f64_e32 v[12:13], v[10:11]
	v_fma_f64 v[14:15], -v[10:11], v[12:13], 1.0
	v_fma_f64 v[12:13], v[12:13], v[14:15], v[12:13]
	v_fma_f64 v[14:15], -v[10:11], v[12:13], 1.0
	v_fma_f64 v[12:13], v[12:13], v[14:15], v[12:13]
	v_div_scale_f64 v[14:15], vcc_lo, 1.0, v[7:8], 1.0
	v_mul_f64 v[16:17], v[14:15], v[12:13]
	v_fma_f64 v[10:11], -v[10:11], v[16:17], v[14:15]
	v_div_fmas_f64 v[10:11], v[10:11], v[12:13], v[16:17]
	v_div_fixup_f64 v[7:8], v[10:11], v[7:8], 1.0
	v_mul_f64 v[5:6], v[5:6], v[7:8]
.LBB41_17:                              ;   in Loop: Header=BB41_9 Depth=1
	v_mul_f64 v[3:4], v[3:4], v[7:8]
	v_fma_f64 v[1:2], v[1:2], v[5:6], -v[3:4]
	s_branch .LBB41_19
.LBB41_18:                              ;   in Loop: Header=BB41_9 Depth=1
	v_mov_b32_e32 v5, 0
	v_mov_b32_e32 v7, 0
	;; [unrolled: 1-line block ×4, first 2 shown]
.LBB41_19:                              ;   in Loop: Header=BB41_9 Depth=1
	global_load_dwordx2 v[10:11], v9, s[12:13]
	global_store_dwordx2 v9, v[1:2], s[12:13] offset:-8
	global_load_dwordx2 v[3:4], v9, s[28:29]
	s_andn2_b32 vcc_lo, exec_lo, s27
	s_waitcnt vmcnt(1)
	v_mul_f64 v[1:2], v[10:11], -v[7:8]
	global_store_dwordx2 v9, v[1:2], s[28:29] offset:-8
	global_load_dwordx2 v[1:2], v9, s[12:13]
	s_cbranch_vccnz .LBB41_8
; %bb.20:                               ;   in Loop: Header=BB41_9 Depth=1
	s_add_i32 s16, s20, s30
	s_lshl_b64 s[34:35], s[16:17], 3
	s_add_u32 s34, s10, s34
	s_addc_u32 s35, s23, s35
	global_store_dwordx2 v9, v[5:6], s[18:19]
	global_store_dwordx2 v9, v[7:8], s[34:35] offset:32
	s_branch .LBB41_8
.LBB41_21:
	s_ashr_i32 s27, s26, 31
	v_mov_b32_e32 v3, 0
	s_lshl_b64 s[12:13], s[26:27], 3
	s_add_u32 s12, s14, s12
	s_addc_u32 s13, s15, s13
	global_store_dwordx2 v3, v[1:2], s[12:13]
.LBB41_22:
	s_or_b32 exec_lo, exec_lo, s0
	s_mov_b32 s23, exec_lo
	s_waitcnt_vscnt null, 0x0
	s_barrier
	buffer_gl0_inv
	v_cmpx_gt_i32_e64 s21, v0
	s_cbranch_execz .LBB41_28
; %bb.23:
	s_load_dword s0, s[4:5], 0x8c
	s_add_i32 s28, s20, -1
	s_cmp_gt_i32 s20, 1
	s_mul_i32 s18, s11, s28
	s_cselect_b32 s29, -1, 0
	s_ashr_i32 s19, s18, 31
	s_mov_b32 s10, s11
	v_mov_b32_e32 v10, 0
	v_mov_b32_e32 v5, v0
	s_mov_b32 s13, 0
	s_mov_b32 s12, s20
	s_waitcnt lgkmcnt(0)
	s_and_b32 s30, s0, 0xffff
	s_add_u32 s31, s6, 8
	s_addc_u32 s33, s7, 0
	s_ashr_i32 s11, s11, 31
	s_lshl_b64 s[14:15], s[8:9], 3
	s_lshl_b64 s[10:11], s[10:11], 4
	s_add_u32 s0, s24, s14
	s_addc_u32 s15, s25, s15
	s_add_u32 s14, s0, 32
	s_addc_u32 s15, s15, 0
	s_lshl_b64 s[16:17], s[12:13], 3
	s_lshl_b64 s[18:19], s[18:19], 4
	s_branch .LBB41_25
.LBB41_24:                              ;   in Loop: Header=BB41_25 Depth=1
	s_inst_prefetch 0x2
	v_add_nc_u32_e32 v5, s30, v5
	v_add_co_u32 v6, s0, v6, s18
	v_add_co_ci_u32_e64 v7, null, s19, v7, s0
	v_cmp_le_i32_e32 vcc_lo, s21, v5
	s_waitcnt vmcnt(0)
	global_store_dwordx4 v[6:7], v[1:4], off
	s_or_b32 s13, vcc_lo, s13
	s_andn2_b32 exec_lo, exec_lo, s13
	s_cbranch_execz .LBB41_28
.LBB41_25:                              ; =>This Loop Header: Depth=1
                                        ;     Child Loop BB41_27 Depth 2
	v_ashrrev_i32_e32 v6, 31, v5
	v_lshlrev_b64 v[8:9], 4, v[5:6]
	v_add_co_u32 v6, vcc_lo, s6, v8
	v_add_co_ci_u32_e64 v7, null, s7, v9, vcc_lo
	s_andn2_b32 vcc_lo, exec_lo, s29
	global_load_dwordx4 v[1:4], v[6:7], off
	s_cbranch_vccnz .LBB41_24
; %bb.26:                               ;   in Loop: Header=BB41_25 Depth=1
	v_add_co_u32 v8, vcc_lo, s31, v8
	v_add_co_ci_u32_e64 v9, null, s33, v9, vcc_lo
	s_mov_b32 s0, s28
	s_mov_b64 s[26:27], s[14:15]
	s_inst_prefetch 0x1
	.p2align	6
.LBB41_27:                              ;   Parent Loop BB41_25 Depth=1
                                        ; =>  This Inner Loop Header: Depth=2
	v_add_co_u32 v19, vcc_lo, v8, s10
	v_add_co_ci_u32_e64 v20, null, s11, v9, vcc_lo
	s_add_u32 s34, s26, s16
	s_addc_u32 s35, s27, s17
	global_load_dwordx4 v[11:14], v[19:20], off offset:-8
	s_clause 0x1
	global_load_dwordx2 v[15:16], v10, s[34:35]
	global_load_dwordx2 v[21:22], v10, s[26:27]
	s_add_u32 s26, s26, 8
	s_addc_u32 s27, s27, 0
	s_add_i32 s0, s0, -1
	s_cmp_lg_u32 s0, 0
	s_waitcnt vmcnt(1)
	v_mul_f64 v[17:18], v[11:12], v[15:16]
	v_mul_f64 v[23:24], v[13:14], v[15:16]
	;; [unrolled: 1-line block ×4, first 2 shown]
	s_waitcnt vmcnt(0)
	v_fma_f64 v[15:16], v[1:2], v[21:22], -v[17:18]
	v_fma_f64 v[17:18], v[3:4], v[21:22], -v[23:24]
	v_fma_f64 v[1:2], v[11:12], v[21:22], v[25:26]
	v_fma_f64 v[3:4], v[13:14], v[21:22], v[27:28]
	global_store_dwordx4 v[8:9], v[15:18], off offset:-8
	v_mov_b32_e32 v8, v19
	v_mov_b32_e32 v9, v20
	s_cbranch_scc1 .LBB41_27
	s_branch .LBB41_24
.LBB41_28:
	s_or_b32 exec_lo, exec_lo, s23
	s_mov_b32 s0, exec_lo
	v_cmpx_gt_i32_e64 s22, v0
	s_cbranch_execz .LBB41_34
; %bb.29:
	s_load_dword s0, s[4:5], 0x8c
	s_add_i32 s4, s20, -1
	s_cmp_gt_i32 s20, 1
	v_mul_lo_u32 v5, v0, s1
	s_cselect_b32 s14, -1, 0
	s_lshl_b64 s[6:7], s[8:9], 3
	s_ashr_i32 s5, s4, 31
	v_mov_b32_e32 v11, 0
	s_mov_b32 s21, 0
	s_waitcnt lgkmcnt(0)
	s_and_b32 s15, s0, 0xffff
	s_add_u32 s0, s24, s6
	s_addc_u32 s7, s25, s7
	s_add_u32 s6, s0, 32
	s_mul_i32 s16, s1, s15
	s_addc_u32 s7, s7, 0
	s_lshl_b64 s[8:9], s[20:21], 3
	s_lshl_b64 s[10:11], s[4:5], 4
	s_branch .LBB41_31
.LBB41_30:                              ;   in Loop: Header=BB41_31 Depth=1
	s_inst_prefetch 0x2
	v_add_nc_u32_e32 v0, s15, v0
	v_add_co_u32 v6, s0, v7, s10
	v_add_co_ci_u32_e64 v7, null, s11, v8, s0
	v_cmp_le_i32_e32 vcc_lo, s22, v0
	v_add_nc_u32_e32 v5, s16, v5
	s_waitcnt vmcnt(0)
	global_store_dwordx4 v[6:7], v[1:4], off
	s_or_b32 s21, vcc_lo, s21
	s_andn2_b32 exec_lo, exec_lo, s21
	s_cbranch_execz .LBB41_34
.LBB41_31:                              ; =>This Loop Header: Depth=1
                                        ;     Child Loop BB41_33 Depth 2
	v_mul_lo_u32 v1, v0, s1
	v_ashrrev_i32_e32 v2, 31, v1
	v_lshlrev_b64 v[1:2], 4, v[1:2]
	v_add_co_u32 v7, vcc_lo, s2, v1
	v_add_co_ci_u32_e64 v8, null, s3, v2, vcc_lo
	s_andn2_b32 vcc_lo, exec_lo, s14
	global_load_dwordx4 v[1:4], v[7:8], off
	s_cbranch_vccnz .LBB41_30
; %bb.32:                               ;   in Loop: Header=BB41_31 Depth=1
	v_ashrrev_i32_e32 v6, 31, v5
	s_mov_b32 s0, s4
	s_mov_b64 s[12:13], s[6:7]
	v_lshlrev_b64 v[9:10], 4, v[5:6]
	v_add_co_u32 v9, vcc_lo, s2, v9
	v_add_co_ci_u32_e64 v10, null, s3, v10, vcc_lo
	s_inst_prefetch 0x1
	.p2align	6
.LBB41_33:                              ;   Parent Loop BB41_31 Depth=1
                                        ; =>  This Inner Loop Header: Depth=2
	s_add_u32 s18, s12, s8
	s_addc_u32 s19, s13, s9
	global_load_dwordx4 v[12:15], v[9:10], off offset:16
	s_clause 0x1
	global_load_dwordx2 v[20:21], v11, s[12:13]
	global_load_dwordx2 v[16:17], v11, s[18:19]
	s_add_u32 s12, s12, 8
	s_addc_u32 s13, s13, 0
	s_add_i32 s0, s0, -1
	s_cmp_lg_u32 s0, 0
	s_waitcnt vmcnt(0)
	v_mul_f64 v[18:19], v[12:13], v[16:17]
	v_mul_f64 v[22:23], v[14:15], v[16:17]
	;; [unrolled: 1-line block ×4, first 2 shown]
	v_fma_f64 v[16:17], v[1:2], v[20:21], -v[18:19]
	v_fma_f64 v[18:19], v[3:4], v[20:21], -v[22:23]
	v_fma_f64 v[1:2], v[12:13], v[20:21], v[24:25]
	v_fma_f64 v[3:4], v[14:15], v[20:21], v[26:27]
	v_add_co_u32 v12, vcc_lo, v9, 16
	v_add_co_ci_u32_e64 v13, null, 0, v10, vcc_lo
	global_store_dwordx4 v[9:10], v[16:19], off
	v_mov_b32_e32 v9, v12
	v_mov_b32_e32 v10, v13
	s_cbranch_scc1 .LBB41_33
	s_branch .LBB41_30
.LBB41_34:
	s_endpgm
	.section	.rodata,"a",@progbits
	.p2align	6, 0x0
	.amdhsa_kernel _ZN9rocsolver6v33100L17bdsqr_lower2upperI19rocblas_complex_numIdEdPS3_S4_EEviiiPT0_lS6_lT1_iilT2_iilPiS6_lS9_
		.amdhsa_group_segment_fixed_size 0
		.amdhsa_private_segment_fixed_size 0
		.amdhsa_kernarg_size 384
		.amdhsa_user_sgpr_count 6
		.amdhsa_user_sgpr_private_segment_buffer 1
		.amdhsa_user_sgpr_dispatch_ptr 0
		.amdhsa_user_sgpr_queue_ptr 0
		.amdhsa_user_sgpr_kernarg_segment_ptr 1
		.amdhsa_user_sgpr_dispatch_id 0
		.amdhsa_user_sgpr_flat_scratch_init 0
		.amdhsa_user_sgpr_private_segment_size 0
		.amdhsa_wavefront_size32 1
		.amdhsa_uses_dynamic_stack 0
		.amdhsa_system_sgpr_private_segment_wavefront_offset 0
		.amdhsa_system_sgpr_workgroup_id_x 1
		.amdhsa_system_sgpr_workgroup_id_y 1
		.amdhsa_system_sgpr_workgroup_id_z 0
		.amdhsa_system_sgpr_workgroup_info 0
		.amdhsa_system_vgpr_workitem_id 0
		.amdhsa_next_free_vgpr 29
		.amdhsa_next_free_sgpr 38
		.amdhsa_reserve_vcc 1
		.amdhsa_reserve_flat_scratch 0
		.amdhsa_float_round_mode_32 0
		.amdhsa_float_round_mode_16_64 0
		.amdhsa_float_denorm_mode_32 3
		.amdhsa_float_denorm_mode_16_64 3
		.amdhsa_dx10_clamp 1
		.amdhsa_ieee_mode 1
		.amdhsa_fp16_overflow 0
		.amdhsa_workgroup_processor_mode 1
		.amdhsa_memory_ordered 1
		.amdhsa_forward_progress 1
		.amdhsa_shared_vgpr_count 0
		.amdhsa_exception_fp_ieee_invalid_op 0
		.amdhsa_exception_fp_denorm_src 0
		.amdhsa_exception_fp_ieee_div_zero 0
		.amdhsa_exception_fp_ieee_overflow 0
		.amdhsa_exception_fp_ieee_underflow 0
		.amdhsa_exception_fp_ieee_inexact 0
		.amdhsa_exception_int_div_zero 0
	.end_amdhsa_kernel
	.section	.text._ZN9rocsolver6v33100L17bdsqr_lower2upperI19rocblas_complex_numIdEdPS3_S4_EEviiiPT0_lS6_lT1_iilT2_iilPiS6_lS9_,"axG",@progbits,_ZN9rocsolver6v33100L17bdsqr_lower2upperI19rocblas_complex_numIdEdPS3_S4_EEviiiPT0_lS6_lT1_iilT2_iilPiS6_lS9_,comdat
.Lfunc_end41:
	.size	_ZN9rocsolver6v33100L17bdsqr_lower2upperI19rocblas_complex_numIdEdPS3_S4_EEviiiPT0_lS6_lT1_iilT2_iilPiS6_lS9_, .Lfunc_end41-_ZN9rocsolver6v33100L17bdsqr_lower2upperI19rocblas_complex_numIdEdPS3_S4_EEviiiPT0_lS6_lT1_iilT2_iilPiS6_lS9_
                                        ; -- End function
	.set _ZN9rocsolver6v33100L17bdsqr_lower2upperI19rocblas_complex_numIdEdPS3_S4_EEviiiPT0_lS6_lT1_iilT2_iilPiS6_lS9_.num_vgpr, 29
	.set _ZN9rocsolver6v33100L17bdsqr_lower2upperI19rocblas_complex_numIdEdPS3_S4_EEviiiPT0_lS6_lT1_iilT2_iilPiS6_lS9_.num_agpr, 0
	.set _ZN9rocsolver6v33100L17bdsqr_lower2upperI19rocblas_complex_numIdEdPS3_S4_EEviiiPT0_lS6_lT1_iilT2_iilPiS6_lS9_.numbered_sgpr, 38
	.set _ZN9rocsolver6v33100L17bdsqr_lower2upperI19rocblas_complex_numIdEdPS3_S4_EEviiiPT0_lS6_lT1_iilT2_iilPiS6_lS9_.num_named_barrier, 0
	.set _ZN9rocsolver6v33100L17bdsqr_lower2upperI19rocblas_complex_numIdEdPS3_S4_EEviiiPT0_lS6_lT1_iilT2_iilPiS6_lS9_.private_seg_size, 0
	.set _ZN9rocsolver6v33100L17bdsqr_lower2upperI19rocblas_complex_numIdEdPS3_S4_EEviiiPT0_lS6_lT1_iilT2_iilPiS6_lS9_.uses_vcc, 1
	.set _ZN9rocsolver6v33100L17bdsqr_lower2upperI19rocblas_complex_numIdEdPS3_S4_EEviiiPT0_lS6_lT1_iilT2_iilPiS6_lS9_.uses_flat_scratch, 0
	.set _ZN9rocsolver6v33100L17bdsqr_lower2upperI19rocblas_complex_numIdEdPS3_S4_EEviiiPT0_lS6_lT1_iilT2_iilPiS6_lS9_.has_dyn_sized_stack, 0
	.set _ZN9rocsolver6v33100L17bdsqr_lower2upperI19rocblas_complex_numIdEdPS3_S4_EEviiiPT0_lS6_lT1_iilT2_iilPiS6_lS9_.has_recursion, 0
	.set _ZN9rocsolver6v33100L17bdsqr_lower2upperI19rocblas_complex_numIdEdPS3_S4_EEviiiPT0_lS6_lT1_iilT2_iilPiS6_lS9_.has_indirect_call, 0
	.section	.AMDGPU.csdata,"",@progbits
; Kernel info:
; codeLenInByte = 2340
; TotalNumSgprs: 40
; NumVgprs: 29
; ScratchSize: 0
; MemoryBound: 0
; FloatMode: 240
; IeeeMode: 1
; LDSByteSize: 0 bytes/workgroup (compile time only)
; SGPRBlocks: 0
; VGPRBlocks: 3
; NumSGPRsForWavesPerEU: 40
; NumVGPRsForWavesPerEU: 29
; Occupancy: 16
; WaveLimiterHint : 0
; COMPUTE_PGM_RSRC2:SCRATCH_EN: 0
; COMPUTE_PGM_RSRC2:USER_SGPR: 6
; COMPUTE_PGM_RSRC2:TRAP_HANDLER: 0
; COMPUTE_PGM_RSRC2:TGID_X_EN: 1
; COMPUTE_PGM_RSRC2:TGID_Y_EN: 1
; COMPUTE_PGM_RSRC2:TGID_Z_EN: 0
; COMPUTE_PGM_RSRC2:TIDIG_COMP_CNT: 0
	.section	.text._ZN9rocsolver6v33100L13bdsqr_computeILi256E19rocblas_complex_numIdEdPS3_S4_S4_EEviiiiPT1_lS6_lT2_iilT3_iilT4_iiliS5_S5_S5_S5_PiS6_ilSA_,"axG",@progbits,_ZN9rocsolver6v33100L13bdsqr_computeILi256E19rocblas_complex_numIdEdPS3_S4_S4_EEviiiiPT1_lS6_lT2_iilT3_iilT4_iiliS5_S5_S5_S5_PiS6_ilSA_,comdat
	.globl	_ZN9rocsolver6v33100L13bdsqr_computeILi256E19rocblas_complex_numIdEdPS3_S4_S4_EEviiiiPT1_lS6_lT2_iilT3_iilT4_iiliS5_S5_S5_S5_PiS6_ilSA_ ; -- Begin function _ZN9rocsolver6v33100L13bdsqr_computeILi256E19rocblas_complex_numIdEdPS3_S4_S4_EEviiiiPT1_lS6_lT2_iilT3_iilT4_iiliS5_S5_S5_S5_PiS6_ilSA_
	.p2align	8
	.type	_ZN9rocsolver6v33100L13bdsqr_computeILi256E19rocblas_complex_numIdEdPS3_S4_S4_EEviiiiPT1_lS6_lT2_iilT3_iilT4_iiliS5_S5_S5_S5_PiS6_ilSA_,@function
_ZN9rocsolver6v33100L13bdsqr_computeILi256E19rocblas_complex_numIdEdPS3_S4_S4_EEviiiiPT1_lS6_lT2_iilT3_iilT4_iiliS5_S5_S5_S5_PiS6_ilSA_: ; @_ZN9rocsolver6v33100L13bdsqr_computeILi256E19rocblas_complex_numIdEdPS3_S4_S4_EEviiiiPT1_lS6_lT2_iilT3_iilT4_iiliS5_S5_S5_S5_PiS6_ilSA_
; %bb.0:
	s_load_dwordx4 s[0:3], s[4:5], 0xb8
	s_ashr_i32 s9, s8, 31
	s_lshl_b64 s[10:11], s[8:9], 2
	s_waitcnt lgkmcnt(0)
	s_add_u32 s2, s2, s10
	s_addc_u32 s3, s3, s11
	s_load_dword s2, s[2:3], 0x8
	s_waitcnt lgkmcnt(0)
	s_cmp_lg_u32 s2, 0
	s_cbranch_scc1 .LBB42_171
; %bb.1:
	s_load_dwordx8 s[12:19], s[4:5], 0x30
	s_mov_b64 s[10:11], 0
	s_mov_b64 s[34:35], 0
	s_waitcnt lgkmcnt(0)
	s_cmp_eq_u64 s[12:13], 0
	s_cbranch_scc1 .LBB42_3
; %bb.2:
	s_mul_i32 s2, s16, s9
	s_mul_hi_u32 s3, s16, s8
	s_mul_i32 s6, s17, s8
	s_add_i32 s2, s3, s2
	s_ashr_i32 s17, s14, 31
	s_add_i32 s3, s2, s6
	s_mul_i32 s2, s16, s8
	s_mov_b32 s16, s14
	s_lshl_b64 s[2:3], s[2:3], 4
	s_add_u32 s6, s12, s2
	s_addc_u32 s12, s13, s3
	s_lshl_b64 s[2:3], s[16:17], 4
	s_add_u32 s34, s6, s2
	s_addc_u32 s35, s12, s3
.LBB42_3:
	s_clause 0x1
	s_load_dwordx2 s[12:13], s[4:5], 0x50
	s_load_dwordx4 s[20:23], s[4:5], 0x58
	s_cmp_eq_u64 s[18:19], 0
	s_cbranch_scc1 .LBB42_5
; %bb.4:
	s_waitcnt lgkmcnt(0)
	s_mul_i32 s2, s20, s9
	s_mul_hi_u32 s3, s20, s8
	s_mul_i32 s6, s21, s8
	s_add_i32 s2, s3, s2
	s_ashr_i32 s11, s12, 31
	s_add_i32 s3, s2, s6
	s_mul_i32 s2, s20, s8
	s_mov_b32 s10, s12
	s_lshl_b64 s[2:3], s[2:3], 4
	s_add_u32 s6, s18, s2
	s_addc_u32 s12, s19, s3
	s_lshl_b64 s[2:3], s[10:11], 4
	s_add_u32 s10, s6, s2
	s_addc_u32 s11, s12, s3
.LBB42_5:
	s_load_dwordx2 s[40:41], s[4:5], 0x68
	s_waitcnt lgkmcnt(0)
	s_cmp_eq_u64 s[22:23], 0
	s_mov_b64 s[42:43], 0
	s_cbranch_scc1 .LBB42_7
; %bb.6:
	s_load_dwordx2 s[2:3], s[4:5], 0x70
	s_ashr_i32 s17, s40, 31
	s_mov_b32 s16, s40
	s_waitcnt lgkmcnt(0)
	s_mul_i32 s6, s2, s9
	s_mul_hi_u32 s12, s2, s8
	s_mul_i32 s3, s3, s8
	s_add_i32 s6, s12, s6
	s_mul_i32 s2, s2, s8
	s_add_i32 s3, s6, s3
	s_lshl_b64 s[2:3], s[2:3], 4
	s_add_u32 s6, s22, s2
	s_addc_u32 s12, s23, s3
	s_lshl_b64 s[2:3], s[16:17], 4
	s_add_u32 s42, s6, s2
	s_addc_u32 s43, s12, s3
.LBB42_7:
	s_load_dwordx8 s[16:23], s[4:5], 0x90
	s_mul_i32 s2, s0, s9
	s_mul_hi_u32 s3, s0, s8
	s_mul_i32 s1, s1, s8
	s_add_i32 s2, s3, s2
	s_mul_i32 s0, s0, s8
	s_add_i32 s1, s2, s1
	s_lshl_b64 s[46:47], s[0:1], 3
	s_waitcnt lgkmcnt(0)
	s_add_u32 s44, s22, s46
	s_addc_u32 s45, s23, s47
	s_load_dwordx2 s[0:1], s[44:45], 0x10
	s_waitcnt lgkmcnt(0)
	v_cvt_i32_f64_e32 v13, s[0:1]
	v_cmp_ge_i32_e32 vcc_lo, s7, v13
	s_cbranch_vccnz .LBB42_171
; %bb.8:
	s_clause 0x1
	s_load_dwordx4 s[36:39], s[4:5], 0x0
	s_load_dwordx8 s[24:31], s[4:5], 0x10
                                        ; implicit-def: $vgpr40 : SGPR spill to VGPR lane
	v_lshlrev_b32_e32 v14, 3, v0
	v_mul_lo_u32 v15, v0, s15
	v_mul_lo_u32 v16, v0, s41
	v_mov_b32_e32 v5, 0
	v_mov_b32_e32 v21, 1
	s_waitcnt lgkmcnt(0)
	s_mul_i32 s0, s8, s36
	s_mul_i32 s3, s26, s9
	s_lshl_b32 s0, s0, 1
	s_mul_hi_u32 s6, s26, s8
	s_ashr_i32 s1, s0, 31
	s_mul_i32 s12, s27, s8
	s_lshl_b64 s[0:1], s[0:1], 2
	s_mul_i32 s2, s26, s8
	s_add_u32 s14, s20, s0
	s_addc_u32 s33, s21, s1
	s_add_i32 s0, s6, s3
	s_mul_i32 s6, s30, s9
	s_add_i32 s3, s0, s12
	s_mul_hi_u32 s9, s30, s8
	s_lshl_b64 s[0:1], s[2:3], 3
	s_mul_i32 s2, s31, s8
	s_add_u32 s36, s24, s0
	s_addc_u32 s40, s25, s1
	s_add_i32 s0, s9, s6
	s_mul_i32 s20, s30, s8
	s_clause 0x1
	s_load_dword s75, s[4:5], 0x78
	s_load_dwordx2 s[8:9], s[4:5], 0x80
	s_add_i32 s21, s0, s2
	s_clause 0x1
	s_load_dword s76, s[4:5], 0xb0
	s_load_dword s77, s[4:5], 0xcc
	s_lshl_b64 s[2:3], s[20:21], 3
	v_cmp_gt_u32_e64 s0, 0x80, v0
	s_add_u32 s72, s28, s2
	s_addc_u32 s73, s29, s3
	s_cmp_lg_u32 s37, 0
	v_add_co_u32 v19, s12, s72, v14
	s_cselect_b32 s74, -1, 0
	s_or_b32 s6, s39, s38
	v_cmp_gt_u32_e64 s1, 64, v0
	s_cmp_eq_u32 s6, 0
	v_cmp_gt_u32_e64 s2, 32, v0
	s_cselect_b32 s78, -1, 0
	s_cmp_lg_u64 s[34:35], 0
	v_cmp_eq_u32_e64 s3, 0, v0
	s_cselect_b32 s6, -1, 0
	v_add_co_ci_u32_e64 v20, null, s73, 0, s12
	s_and_b32 s79, s74, s6
	s_add_u32 s26, s4, 0xc8
	s_waitcnt lgkmcnt(0)
	v_writelane_b32 v40, s8, 0
	s_addc_u32 s27, s5, 0
	s_cmp_lg_u64 s[10:11], 0
	v_cmp_gt_i32_e64 s4, s37, v0
	s_cselect_b32 s6, -1, 0
	s_cmp_lg_u32 s38, 0
	v_writelane_b32 v40, s9, 1
	s_cselect_b32 s8, -1, 0
	v_add_co_u32 v17, s9, s36, v14
	s_and_b32 s80, s8, s6
	s_cmp_lg_u64 s[42:43], 0
	v_add_co_ci_u32_e64 v18, null, s40, 0, s9
	s_cselect_b32 s8, -1, 0
	s_cmp_lg_u32 s39, 0
	v_cmp_gt_i32_e64 s5, s38, v0
	s_cselect_b32 s9, -1, 0
	v_cmp_gt_i32_e64 s6, s39, v0
	s_and_b32 s81, s9, s8
	s_add_u32 s8, s36, -8
	v_writelane_b32 v40, s8, 2
	s_addc_u32 s8, s40, -1
	s_add_u32 s84, s22, s46
	s_addc_u32 s85, s23, s47
	s_add_u32 s86, s84, 24
	v_writelane_b32 v40, s8, 3
	s_addc_u32 s87, s85, 0
	s_add_u32 s8, s28, -8
	v_writelane_b32 v40, s8, 4
	s_addc_u32 s8, s29, -1
	v_writelane_b32 v40, s8, 5
	s_add_u32 s8, s72, -8
	v_writelane_b32 v40, s8, 6
	s_addc_u32 s8, s73, -1
	v_writelane_b32 v40, s8, 7
	s_add_u32 s8, s34, 8
	v_writelane_b32 v40, s8, 8
	s_addc_u32 s8, s35, 0
	s_add_u32 s94, s42, 8
	s_addc_u32 s95, s43, 0
	v_writelane_b32 v40, s8, 9
	s_branch .LBB42_11
.LBB42_9:                               ;   in Loop: Header=BB42_11 Depth=1
	s_or_b32 exec_lo, exec_lo, s24
.LBB42_10:                              ;   in Loop: Header=BB42_11 Depth=1
	s_add_i32 s7, s77, s7
	v_cmp_lt_i32_e32 vcc_lo, s7, v13
	s_cbranch_vccz .LBB42_171
.LBB42_11:                              ; =>This Loop Header: Depth=1
                                        ;     Child Loop BB42_15 Depth 2
                                        ;     Child Loop BB42_40 Depth 2
	;; [unrolled: 1-line block ×5, first 2 shown]
                                        ;       Child Loop BB42_155 Depth 3
                                        ;     Child Loop BB42_160 Depth 2
                                        ;       Child Loop BB42_161 Depth 3
                                        ;     Child Loop BB42_166 Depth 2
                                        ;       Child Loop BB42_167 Depth 3
	s_lshl_b32 s8, s7, 2
	s_ashr_i32 s9, s8, 31
	s_lshl_b64 s[8:9], s[8:9], 2
	s_add_u32 s48, s14, s8
	s_addc_u32 s49, s33, s9
	global_load_dwordx2 v[1:2], v5, s[48:49] offset:4
	s_waitcnt vmcnt(0)
	v_readfirstlane_b32 s28, v2
	v_readfirstlane_b32 s30, v1
	s_cmp_le_i32 s28, s30
	s_cbranch_scc1 .LBB42_10
; %bb.12:                               ;   in Loop: Header=BB42_11 Depth=1
	global_load_dword v1, v5, s[48:49] offset:12
	s_waitcnt vmcnt(0)
	v_cmp_le_i32_e32 vcc_lo, s75, v1
	s_cbranch_vccnz .LBB42_10
; %bb.13:                               ;   in Loop: Header=BB42_11 Depth=1
	v_mov_b32_e32 v1, 0
	v_mov_b32_e32 v2, 0
	s_sub_i32 s22, s28, s30
	s_ashr_i32 s31, s30, 31
	s_mov_b32 s12, exec_lo
	v_cmpx_ge_i32_e64 s22, v0
	s_cbranch_execz .LBB42_17
; %bb.14:                               ;   in Loop: Header=BB42_11 Depth=1
	s_lshl_b64 s[8:9], s[30:31], 3
	v_mov_b32_e32 v1, 0
	v_add_co_u32 v3, vcc_lo, v17, s8
	v_add_co_ci_u32_e64 v4, null, s9, v18, vcc_lo
	v_mov_b32_e32 v2, 0
	v_mov_b32_e32 v6, v0
	s_mov_b32 s23, 0
	.p2align	6
.LBB42_15:                              ;   Parent Loop BB42_11 Depth=1
                                        ; =>  This Inner Loop Header: Depth=2
	global_load_dwordx2 v[7:8], v[3:4], off
	v_add_nc_u32_e32 v6, 0x100, v6
	v_add_co_u32 v3, s8, 0x800, v3
	v_add_co_ci_u32_e64 v4, null, 0, v4, s8
	v_cmp_lt_i32_e64 s9, s22, v6
	s_or_b32 s23, s9, s23
	s_waitcnt vmcnt(0)
	v_cmp_lt_f64_e64 vcc_lo, v[1:2], |v[7:8]|
	v_and_b32_e32 v9, 0x7fffffff, v8
	v_cndmask_b32_e32 v2, v2, v9, vcc_lo
	v_cndmask_b32_e32 v1, v1, v7, vcc_lo
	s_andn2_b32 exec_lo, exec_lo, s23
	s_cbranch_execnz .LBB42_15
; %bb.16:                               ;   in Loop: Header=BB42_11 Depth=1
	s_or_b32 exec_lo, exec_lo, s23
.LBB42_17:                              ;   in Loop: Header=BB42_11 Depth=1
	s_or_b32 exec_lo, exec_lo, s12
	ds_write_b64 v14, v[1:2]
	s_waitcnt lgkmcnt(0)
	s_barrier
	buffer_gl0_inv
	s_and_saveexec_b32 s8, s0
	s_cbranch_execz .LBB42_21
; %bb.18:                               ;   in Loop: Header=BB42_11 Depth=1
	ds_read_b64 v[3:4], v14 offset:1024
	s_mov_b32 s9, exec_lo
	s_waitcnt lgkmcnt(0)
	v_cmpx_lt_f64_e32 v[1:2], v[3:4]
; %bb.19:                               ;   in Loop: Header=BB42_11 Depth=1
	v_mov_b32_e32 v1, v3
	v_mov_b32_e32 v2, v4
	ds_write_b64 v14, v[3:4]
; %bb.20:                               ;   in Loop: Header=BB42_11 Depth=1
	s_or_b32 exec_lo, exec_lo, s9
.LBB42_21:                              ;   in Loop: Header=BB42_11 Depth=1
	s_or_b32 exec_lo, exec_lo, s8
	s_waitcnt lgkmcnt(0)
	s_barrier
	buffer_gl0_inv
	s_and_saveexec_b32 s8, s1
	s_cbranch_execz .LBB42_25
; %bb.22:                               ;   in Loop: Header=BB42_11 Depth=1
	ds_read_b64 v[3:4], v14 offset:512
	s_mov_b32 s9, exec_lo
	s_waitcnt lgkmcnt(0)
	v_cmpx_lt_f64_e32 v[1:2], v[3:4]
; %bb.23:                               ;   in Loop: Header=BB42_11 Depth=1
	v_mov_b32_e32 v1, v3
	v_mov_b32_e32 v2, v4
	ds_write_b64 v14, v[3:4]
; %bb.24:                               ;   in Loop: Header=BB42_11 Depth=1
	s_or_b32 exec_lo, exec_lo, s9
.LBB42_25:                              ;   in Loop: Header=BB42_11 Depth=1
	s_or_b32 exec_lo, exec_lo, s8
	s_waitcnt lgkmcnt(0)
	s_barrier
	buffer_gl0_inv
	s_and_saveexec_b32 s8, s2
	s_cbranch_execz .LBB42_38
; %bb.26:                               ;   in Loop: Header=BB42_11 Depth=1
	ds_read_b64 v[3:4], v14 offset:256
	s_mov_b32 s9, exec_lo
	s_waitcnt lgkmcnt(0)
	v_cmpx_lt_f64_e32 v[1:2], v[3:4]
; %bb.27:                               ;   in Loop: Header=BB42_11 Depth=1
	v_mov_b32_e32 v1, v3
	v_mov_b32_e32 v2, v4
	ds_write_b64 v14, v[3:4]
; %bb.28:                               ;   in Loop: Header=BB42_11 Depth=1
	s_or_b32 exec_lo, exec_lo, s9
	ds_read_b64 v[3:4], v14 offset:128
	s_mov_b32 s9, exec_lo
	s_waitcnt lgkmcnt(0)
	v_cmpx_lt_f64_e32 v[1:2], v[3:4]
; %bb.29:                               ;   in Loop: Header=BB42_11 Depth=1
	v_mov_b32_e32 v1, v3
	v_mov_b32_e32 v2, v4
	ds_write_b64 v14, v[3:4]
; %bb.30:                               ;   in Loop: Header=BB42_11 Depth=1
	s_or_b32 exec_lo, exec_lo, s9
	;; [unrolled: 10-line block ×5, first 2 shown]
	ds_read_b64 v[3:4], v14 offset:8
	s_waitcnt lgkmcnt(0)
	v_cmp_lt_f64_e32 vcc_lo, v[1:2], v[3:4]
	s_and_b32 exec_lo, exec_lo, vcc_lo
; %bb.37:                               ;   in Loop: Header=BB42_11 Depth=1
	ds_write_b64 v14, v[3:4]
.LBB42_38:                              ;   in Loop: Header=BB42_11 Depth=1
	s_or_b32 exec_lo, exec_lo, s8
	v_mov_b32_e32 v1, 0
	v_mov_b32_e32 v2, 0
	s_mov_b32 s12, exec_lo
	s_waitcnt lgkmcnt(0)
	s_barrier
	buffer_gl0_inv
	v_cmpx_gt_i32_e64 s22, v0
	s_cbranch_execz .LBB42_42
; %bb.39:                               ;   in Loop: Header=BB42_11 Depth=1
	s_lshl_b64 s[8:9], s[30:31], 3
	v_mov_b32_e32 v1, 0
	v_add_co_u32 v3, vcc_lo, v19, s8
	v_add_co_ci_u32_e64 v4, null, s9, v20, vcc_lo
	v_mov_b32_e32 v2, 0
	v_mov_b32_e32 v6, v0
	s_mov_b32 s23, 0
	.p2align	6
.LBB42_40:                              ;   Parent Loop BB42_11 Depth=1
                                        ; =>  This Inner Loop Header: Depth=2
	global_load_dwordx2 v[7:8], v[3:4], off
	v_add_nc_u32_e32 v6, 0x100, v6
	v_add_co_u32 v3, s8, 0x800, v3
	v_add_co_ci_u32_e64 v4, null, 0, v4, s8
	v_cmp_le_i32_e64 s9, s22, v6
	s_or_b32 s23, s9, s23
	s_waitcnt vmcnt(0)
	v_cmp_lt_f64_e64 vcc_lo, v[1:2], |v[7:8]|
	v_and_b32_e32 v9, 0x7fffffff, v8
	v_cndmask_b32_e32 v2, v2, v9, vcc_lo
	v_cndmask_b32_e32 v1, v1, v7, vcc_lo
	s_andn2_b32 exec_lo, exec_lo, s23
	s_cbranch_execnz .LBB42_40
; %bb.41:                               ;   in Loop: Header=BB42_11 Depth=1
	s_or_b32 exec_lo, exec_lo, s23
.LBB42_42:                              ;   in Loop: Header=BB42_11 Depth=1
	s_or_b32 exec_lo, exec_lo, s12
	s_cmp_lt_i32 s22, 2
	ds_write_b64 v14, v[1:2] offset:8
	s_waitcnt lgkmcnt(0)
	s_barrier
	buffer_gl0_inv
	s_cbranch_scc1 .LBB42_65
; %bb.43:                               ;   in Loop: Header=BB42_11 Depth=1
	s_and_saveexec_b32 s8, s0
	s_cbranch_execz .LBB42_47
; %bb.44:                               ;   in Loop: Header=BB42_11 Depth=1
	ds_read_b64 v[3:4], v14 offset:1032
	s_mov_b32 s9, exec_lo
	s_waitcnt lgkmcnt(0)
	v_cmpx_lt_f64_e32 v[1:2], v[3:4]
; %bb.45:                               ;   in Loop: Header=BB42_11 Depth=1
	v_mov_b32_e32 v1, v3
	v_mov_b32_e32 v2, v4
	ds_write_b64 v14, v[3:4] offset:8
; %bb.46:                               ;   in Loop: Header=BB42_11 Depth=1
	s_or_b32 exec_lo, exec_lo, s9
.LBB42_47:                              ;   in Loop: Header=BB42_11 Depth=1
	s_or_b32 exec_lo, exec_lo, s8
	s_waitcnt lgkmcnt(0)
	s_barrier
	buffer_gl0_inv
	s_and_saveexec_b32 s8, s1
	s_cbranch_execz .LBB42_51
; %bb.48:                               ;   in Loop: Header=BB42_11 Depth=1
	ds_read_b64 v[3:4], v14 offset:520
	s_mov_b32 s9, exec_lo
	s_waitcnt lgkmcnt(0)
	v_cmpx_lt_f64_e32 v[1:2], v[3:4]
; %bb.49:                               ;   in Loop: Header=BB42_11 Depth=1
	v_mov_b32_e32 v1, v3
	v_mov_b32_e32 v2, v4
	ds_write_b64 v14, v[3:4] offset:8
; %bb.50:                               ;   in Loop: Header=BB42_11 Depth=1
	s_or_b32 exec_lo, exec_lo, s9
.LBB42_51:                              ;   in Loop: Header=BB42_11 Depth=1
	s_or_b32 exec_lo, exec_lo, s8
	s_waitcnt lgkmcnt(0)
	s_barrier
	buffer_gl0_inv
	s_and_saveexec_b32 s8, s2
	s_cbranch_execz .LBB42_64
; %bb.52:                               ;   in Loop: Header=BB42_11 Depth=1
	ds_read_b64 v[3:4], v14 offset:264
	s_mov_b32 s9, exec_lo
	s_waitcnt lgkmcnt(0)
	v_cmpx_lt_f64_e32 v[1:2], v[3:4]
; %bb.53:                               ;   in Loop: Header=BB42_11 Depth=1
	v_mov_b32_e32 v1, v3
	v_mov_b32_e32 v2, v4
	ds_write_b64 v14, v[3:4] offset:8
; %bb.54:                               ;   in Loop: Header=BB42_11 Depth=1
	s_or_b32 exec_lo, exec_lo, s9
	ds_read_b64 v[3:4], v14 offset:136
	s_mov_b32 s9, exec_lo
	s_waitcnt lgkmcnt(0)
	v_cmpx_lt_f64_e32 v[1:2], v[3:4]
; %bb.55:                               ;   in Loop: Header=BB42_11 Depth=1
	v_mov_b32_e32 v1, v3
	v_mov_b32_e32 v2, v4
	ds_write_b64 v14, v[3:4] offset:8
; %bb.56:                               ;   in Loop: Header=BB42_11 Depth=1
	s_or_b32 exec_lo, exec_lo, s9
	;; [unrolled: 10-line block ×5, first 2 shown]
	ds_read_b64 v[3:4], v14 offset:16
	s_waitcnt lgkmcnt(0)
	v_cmp_lt_f64_e32 vcc_lo, v[1:2], v[3:4]
	s_and_b32 exec_lo, exec_lo, vcc_lo
; %bb.63:                               ;   in Loop: Header=BB42_11 Depth=1
	ds_write_b64 v14, v[3:4] offset:8
.LBB42_64:                              ;   in Loop: Header=BB42_11 Depth=1
	s_or_b32 exec_lo, exec_lo, s8
.LBB42_65:                              ;   in Loop: Header=BB42_11 Depth=1
	s_lshl_b64 s[46:47], s[30:31], 3
	s_waitcnt lgkmcnt(0)
	s_add_u32 s12, s72, s46
	s_addc_u32 s96, s73, s47
	s_add_u32 s58, s36, s46
	s_addc_u32 s59, s40, s47
	s_barrier
	buffer_gl0_inv
	s_and_saveexec_b32 s9, s3
	s_cbranch_execz .LBB42_79
; %bb.66:                               ;   in Loop: Header=BB42_11 Depth=1
	s_ashr_i32 s29, s28, 31
	s_lshl_b64 s[24:25], s[28:29], 3
	s_add_u32 s24, s36, s24
	s_addc_u32 s25, s40, s25
	s_clause 0x1
	global_load_dwordx2 v[1:2], v5, s[58:59]
	global_load_dwordx2 v[3:4], v5, s[24:25]
	s_ashr_i32 s23, s22, 31
	s_lshl_b64 s[24:25], s[22:23], 3
	s_add_u32 s23, s58, s24
	s_addc_u32 s24, s59, s25
	s_waitcnt vmcnt(0)
	v_cmp_ge_f64_e64 s8, |v[1:2]|, |v[3:4]|
	v_and_b32_e32 v2, 0x7fffffff, v2
	v_and_b32_e32 v4, 0x7fffffff, v4
	s_and_b32 s25, s8, exec_lo
	s_cselect_b32 s25, s59, s24
	s_cselect_b32 s24, s58, s23
	v_cndmask_b32_e64 v6, 0, 1, s8
	global_load_dwordx2 v[7:8], v5, s[24:25]
	s_not_b32 s23, s30
	s_mov_b32 s24, 0
	s_add_i32 s23, s23, s28
	ds_write_b32 v5, v6 offset:2064
	s_waitcnt vmcnt(0)
	v_and_b32_e32 v8, 0x7fffffff, v8
	v_mov_b32_e32 v10, v8
	v_mov_b32_e32 v9, v7
	s_branch .LBB42_68
.LBB42_67:                              ;   in Loop: Header=BB42_68 Depth=2
	s_add_i32 s24, s24, 1
	s_and_b32 s25, s8, exec_lo
	s_cselect_b32 s52, s24, s23
	v_add_f64 v[11:12], v[9:10], |v[11:12]|
	s_ashr_i32 s53, s52, 31
	s_mov_b32 s25, 0
	s_lshl_b64 s[52:53], s[52:53], 3
	s_add_u32 s52, s58, s52
	s_addc_u32 s53, s59, s53
	s_add_i32 s23, s23, -1
	global_load_dwordx2 v[22:23], v5, s[52:53]
	s_cmp_eq_u32 s23, -1
	s_cselect_b32 s29, -1, 0
	v_div_scale_f64 v[24:25], null, v[11:12], v[11:12], v[9:10]
	v_rcp_f64_e32 v[26:27], v[24:25]
	v_fma_f64 v[28:29], -v[24:25], v[26:27], 1.0
	v_fma_f64 v[26:27], v[26:27], v[28:29], v[26:27]
	v_fma_f64 v[28:29], -v[24:25], v[26:27], 1.0
	v_fma_f64 v[26:27], v[26:27], v[28:29], v[26:27]
	v_div_scale_f64 v[28:29], vcc_lo, v[9:10], v[11:12], v[9:10]
	v_mul_f64 v[30:31], v[28:29], v[26:27]
	v_fma_f64 v[24:25], -v[24:25], v[30:31], v[28:29]
	v_div_fmas_f64 v[24:25], v[24:25], v[26:27], v[30:31]
	v_div_fixup_f64 v[9:10], v[24:25], v[11:12], v[9:10]
	s_waitcnt vmcnt(0)
	v_mul_f64 v[9:10], v[9:10], |v[22:23]|
	v_cmp_lt_f64_e32 vcc_lo, v[9:10], v[7:8]
	v_cndmask_b32_e32 v8, v8, v10, vcc_lo
	v_cndmask_b32_e32 v7, v7, v9, vcc_lo
	s_andn2_b32 vcc_lo, exec_lo, s29
	s_cbranch_vccz .LBB42_70
.LBB42_68:                              ;   Parent Loop BB42_11 Depth=1
                                        ; =>  This Inner Loop Header: Depth=2
	s_and_b32 s25, s8, exec_lo
	s_cselect_b32 s50, s24, s23
	v_mul_f64 v[22:23], s[16:17], v[9:10]
	s_ashr_i32 s51, s50, 31
	s_lshl_b64 s[50:51], s[50:51], 3
	s_add_u32 s50, s12, s50
	s_addc_u32 s51, s96, s51
	global_load_dwordx2 v[11:12], v5, s[50:51]
	s_waitcnt vmcnt(0)
	v_cmp_nle_f64_e64 s25, |v[11:12]|, v[22:23]
	s_and_b32 vcc_lo, exec_lo, s25
	s_cbranch_vccnz .LBB42_67
; %bb.69:                               ;   in Loop: Header=BB42_11 Depth=1
	s_mov_b32 s25, -1
                                        ; implicit-def: $vgpr9_vgpr10
                                        ; implicit-def: $sgpr23
                                        ; implicit-def: $sgpr24
                                        ; implicit-def: $vgpr7_vgpr8
.LBB42_70:                              ;   in Loop: Header=BB42_11 Depth=1
	s_and_b32 vcc_lo, exec_lo, s25
	s_cbranch_vccz .LBB42_72
; %bb.71:                               ;   in Loop: Header=BB42_11 Depth=1
	v_mov_b32_e32 v7, 0
	v_mov_b32_e32 v6, v5
	;; [unrolled: 1-line block ×3, first 2 shown]
	global_store_dwordx2 v5, v[5:6], s[50:51]
.LBB42_72:                              ;   in Loop: Header=BB42_11 Depth=1
	v_cmp_nle_f64_e32 vcc_lo, 0, v[7:8]
	ds_write_b64 v5, v[7:8] offset:2056
	ds_write_b8 v5, v5 offset:2068
	s_cbranch_vccnz .LBB42_79
; %bb.73:                               ;   in Loop: Header=BB42_11 Depth=1
	ds_read_b128 v[9:12], v5
	s_mov_b32 s23, -1
	s_waitcnt lgkmcnt(0)
	v_cmp_lt_f64_e32 vcc_lo, v[9:10], v[11:12]
	v_cndmask_b32_e32 v10, v10, v12, vcc_lo
	v_cndmask_b32_e32 v9, v9, v11, vcc_lo
	v_div_scale_f64 v[11:12], null, v[9:10], v[9:10], v[7:8]
	v_rcp_f64_e32 v[22:23], v[11:12]
	v_fma_f64 v[24:25], -v[11:12], v[22:23], 1.0
	v_fma_f64 v[22:23], v[22:23], v[24:25], v[22:23]
	v_fma_f64 v[24:25], -v[11:12], v[22:23], 1.0
	v_fma_f64 v[22:23], v[22:23], v[24:25], v[22:23]
	v_div_scale_f64 v[24:25], vcc_lo, v[7:8], v[9:10], v[7:8]
	v_mul_f64 v[26:27], v[24:25], v[22:23]
	v_fma_f64 v[11:12], -v[11:12], v[26:27], v[24:25]
	v_div_fmas_f64 v[11:12], v[11:12], v[22:23], v[26:27]
	v_div_fixup_f64 v[9:10], v[11:12], v[9:10], v[7:8]
	v_cmp_ge_f64_e32 vcc_lo, s[18:19], v[9:10]
	s_cbranch_vccnz .LBB42_76
; %bb.74:                               ;   in Loop: Header=BB42_11 Depth=1
	v_cndmask_b32_e64 v2, v4, v2, s8
	v_cndmask_b32_e64 v1, v3, v1, s8
	s_mov_b32 s23, 0
	v_cmp_lt_f64_e32 vcc_lo, 0, v[1:2]
	s_cbranch_vccz .LBB42_76
; %bb.75:                               ;   in Loop: Header=BB42_11 Depth=1
	v_mul_f64 v[3:4], v[7:8], v[7:8]
	v_readlane_b32 s24, v40, 0
	v_readlane_b32 s25, v40, 1
	v_div_scale_f64 v[6:7], null, v[1:2], v[1:2], v[3:4]
	v_div_scale_f64 v[22:23], vcc_lo, v[3:4], v[1:2], v[3:4]
	v_rcp_f64_e32 v[8:9], v[6:7]
	v_fma_f64 v[10:11], -v[6:7], v[8:9], 1.0
	v_fma_f64 v[8:9], v[8:9], v[10:11], v[8:9]
	v_fma_f64 v[10:11], -v[6:7], v[8:9], 1.0
	v_fma_f64 v[8:9], v[8:9], v[10:11], v[8:9]
	v_mul_f64 v[10:11], v[22:23], v[8:9]
	v_fma_f64 v[6:7], -v[6:7], v[10:11], v[22:23]
	v_div_fmas_f64 v[6:7], v[6:7], v[8:9], v[10:11]
	v_div_fixup_f64 v[3:4], v[6:7], v[1:2], v[3:4]
	v_div_scale_f64 v[6:7], null, v[1:2], v[1:2], v[3:4]
	v_rcp_f64_e32 v[8:9], v[6:7]
	v_fma_f64 v[10:11], -v[6:7], v[8:9], 1.0
	v_fma_f64 v[8:9], v[8:9], v[10:11], v[8:9]
	v_fma_f64 v[10:11], -v[6:7], v[8:9], 1.0
	v_fma_f64 v[8:9], v[8:9], v[10:11], v[8:9]
	v_div_scale_f64 v[10:11], vcc_lo, v[3:4], v[1:2], v[3:4]
	v_mul_f64 v[22:23], v[10:11], v[8:9]
	v_fma_f64 v[6:7], -v[6:7], v[22:23], v[10:11]
	v_div_fmas_f64 v[6:7], v[6:7], v[8:9], v[22:23]
	v_div_fixup_f64 v[1:2], v[6:7], v[1:2], v[3:4]
	v_cmp_gt_f64_e64 s23, s[24:25], v[1:2]
.LBB42_76:                              ;   in Loop: Header=BB42_11 Depth=1
	s_and_b32 vcc_lo, exec_lo, s23
	s_cbranch_vccz .LBB42_78
; %bb.77:                               ;   in Loop: Header=BB42_11 Depth=1
	v_mov_b32_e32 v6, v5
	ds_write_b64 v5, v[5:6] offset:2056
.LBB42_78:                              ;   in Loop: Header=BB42_11 Depth=1
	ds_write_b8 v5, v21 offset:2068
.LBB42_79:                              ;   in Loop: Header=BB42_11 Depth=1
	s_or_b32 exec_lo, exec_lo, s9
	s_waitcnt lgkmcnt(0)
	s_waitcnt_vscnt null, 0x0
	s_barrier
	buffer_gl0_inv
	ds_read_u8 v1, v5 offset:2068
	s_mov_b32 s8, -1
	s_waitcnt lgkmcnt(0)
	v_cmp_eq_u32_e32 vcc_lo, 0, v1
	s_cbranch_vccz .LBB42_83
; %bb.80:                               ;   in Loop: Header=BB42_11 Depth=1
	s_and_saveexec_b32 s8, s3
	s_cbranch_execz .LBB42_82
; %bb.81:                               ;   in Loop: Header=BB42_11 Depth=1
	global_store_dword v5, v5, s[48:49]
.LBB42_82:                              ;   in Loop: Header=BB42_11 Depth=1
	s_or_b32 exec_lo, exec_lo, s8
	s_mov_b32 s8, 0
.LBB42_83:                              ;   in Loop: Header=BB42_11 Depth=1
	s_andn2_b32 vcc_lo, exec_lo, s8
	s_cbranch_vccnz .LBB42_10
; %bb.84:                               ;   in Loop: Header=BB42_11 Depth=1
	ds_read_b32 v1, v5 offset:2064
	s_waitcnt lgkmcnt(0)
	v_readfirstlane_b32 s8, v1
	s_and_saveexec_b32 s9, s3
	s_cbranch_execz .LBB42_86
; %bb.85:                               ;   in Loop: Header=BB42_11 Depth=1
	s_cmp_eq_u32 s8, 0
	s_cselect_b32 s23, -1, 1
	v_mov_b32_e32 v1, s23
	global_store_dword v5, v1, s[48:49]
.LBB42_86:                              ;   in Loop: Header=BB42_11 Depth=1
	s_or_b32 exec_lo, exec_lo, s9
	s_add_i32 s54, s22, 1
	s_mul_i32 s48, s30, s76
	s_sub_i32 s52, 1, s8
	s_ashr_i32 s49, s48, 31
	s_sub_i32 s50, s8, s52
	s_lshl_b32 s9, s54, 1
	s_and_b32 s23, s74, exec_lo
	s_cselect_b32 s23, s9, 0
	s_and_saveexec_b32 s29, s3
	s_cbranch_execz .LBB42_149
; %bb.87:                               ;   in Loop: Header=BB42_11 Depth=1
	s_cmp_lg_u32 s8, 0
	v_mov_b32_e32 v8, 0
	s_cselect_b32 s97, -1, 0
	v_mov_b32_e32 v1, 0
	s_and_b32 s9, s97, exec_lo
	s_cselect_b32 s56, 0, s22
	v_mov_b32_e32 v9, 0
	s_ashr_i32 s57, s56, 31
	v_mov_b32_e32 v2, 0
	s_lshl_b64 s[24:25], s[56:57], 3
	s_add_u32 s60, s58, s24
	s_addc_u32 s61, s59, s25
	global_load_dwordx2 v[3:4], v5, s[60:61]
	s_waitcnt vmcnt(0)
	v_cmp_eq_f64_e32 vcc_lo, 0, v[3:4]
	s_cbranch_vccnz .LBB42_89
; %bb.88:                               ;   in Loop: Header=BB42_11 Depth=1
	ds_read_b64 v[1:2], v5 offset:2056
	s_waitcnt lgkmcnt(0)
	v_div_scale_f64 v[6:7], null, v[3:4], v[3:4], v[1:2]
	v_rcp_f64_e32 v[10:11], v[6:7]
	v_fma_f64 v[22:23], -v[6:7], v[10:11], 1.0
	v_fma_f64 v[10:11], v[10:11], v[22:23], v[10:11]
	v_fma_f64 v[22:23], -v[6:7], v[10:11], 1.0
	v_fma_f64 v[10:11], v[10:11], v[22:23], v[10:11]
	v_div_scale_f64 v[22:23], vcc_lo, v[1:2], v[3:4], v[1:2]
	v_mul_f64 v[24:25], v[22:23], v[10:11]
	v_fma_f64 v[6:7], -v[6:7], v[24:25], v[22:23]
	v_div_fmas_f64 v[6:7], v[6:7], v[10:11], v[24:25]
	v_cmp_lt_f64_e32 vcc_lo, 0, v[3:4]
	v_div_fixup_f64 v[6:7], v[6:7], v[3:4], v[1:2]
	v_cndmask_b32_e64 v10, 0, 1, vcc_lo
	v_cmp_gt_f64_e32 vcc_lo, 0, v[3:4]
	v_add_f64 v[1:2], |v[3:4]|, -v[1:2]
	v_subrev_co_ci_u32_e64 v10, null, 0, v10, vcc_lo
	v_cvt_f64_i32_e32 v[10:11], v10
	v_add_f64 v[6:7], v[6:7], v[10:11]
	v_mul_f64 v[1:2], v[1:2], v[6:7]
.LBB42_89:                              ;   in Loop: Header=BB42_11 Depth=1
	s_ashr_i32 s9, s8, 31
	s_sub_u32 s51, 0, s8
	s_subb_u32 s53, 0, s9
	s_add_u32 s58, s56, s8
	s_addc_u32 s59, s57, s9
	s_lshl_b64 s[62:63], s[58:59], 3
	s_add_u32 s64, s12, s62
	s_addc_u32 s65, s96, s63
	global_load_dwordx2 v[6:7], v5, s[64:65] offset:-8
	s_waitcnt vmcnt(0)
	v_cmp_eq_f64_e32 vcc_lo, 0, v[6:7]
	s_cbranch_vccnz .LBB42_93
; %bb.90:                               ;   in Loop: Header=BB42_11 Depth=1
	v_cmp_eq_f64_e32 vcc_lo, 0, v[1:2]
	s_cbranch_vccnz .LBB42_94
; %bb.91:                               ;   in Loop: Header=BB42_11 Depth=1
	v_cmp_gt_f64_e64 s24, |v[6:7]|, |v[1:2]|
	s_and_b32 vcc_lo, exec_lo, s24
	s_cbranch_vccnz .LBB42_95
; %bb.92:                               ;   in Loop: Header=BB42_11 Depth=1
	v_div_scale_f64 v[8:9], null, v[1:2], v[1:2], -v[6:7]
	v_div_scale_f64 v[24:25], vcc_lo, -v[6:7], v[1:2], -v[6:7]
	v_rcp_f64_e32 v[10:11], v[8:9]
	v_fma_f64 v[22:23], -v[8:9], v[10:11], 1.0
	v_fma_f64 v[10:11], v[10:11], v[22:23], v[10:11]
	v_fma_f64 v[22:23], -v[8:9], v[10:11], 1.0
	v_fma_f64 v[10:11], v[10:11], v[22:23], v[10:11]
	v_mul_f64 v[22:23], v[24:25], v[10:11]
	v_fma_f64 v[8:9], -v[8:9], v[22:23], v[24:25]
	v_div_fmas_f64 v[8:9], v[8:9], v[10:11], v[22:23]
	v_div_fixup_f64 v[8:9], v[8:9], v[1:2], -v[6:7]
	v_fma_f64 v[10:11], v[8:9], v[8:9], 1.0
	v_cmp_gt_f64_e32 vcc_lo, 0x10000000, v[10:11]
	s_and_b32 s24, vcc_lo, exec_lo
	s_cselect_b32 s24, 0x100, 0
	v_ldexp_f64 v[10:11], v[10:11], s24
	s_cselect_b32 s24, 0xffffff80, 0
	v_rsq_f64_e32 v[22:23], v[10:11]
	v_cmp_class_f64_e64 vcc_lo, v[10:11], 0x260
	v_mul_f64 v[24:25], v[10:11], v[22:23]
	v_mul_f64 v[22:23], v[22:23], 0.5
	v_fma_f64 v[26:27], -v[22:23], v[24:25], 0.5
	v_fma_f64 v[24:25], v[24:25], v[26:27], v[24:25]
	v_fma_f64 v[22:23], v[22:23], v[26:27], v[22:23]
	v_fma_f64 v[26:27], -v[24:25], v[24:25], v[10:11]
	v_fma_f64 v[24:25], v[26:27], v[22:23], v[24:25]
	v_fma_f64 v[26:27], -v[24:25], v[24:25], v[10:11]
	v_fma_f64 v[22:23], v[26:27], v[22:23], v[24:25]
	v_ldexp_f64 v[22:23], v[22:23], s24
	v_cndmask_b32_e32 v11, v23, v11, vcc_lo
	v_cndmask_b32_e32 v10, v22, v10, vcc_lo
	v_div_scale_f64 v[22:23], null, v[10:11], v[10:11], 1.0
	v_rcp_f64_e32 v[24:25], v[22:23]
	v_fma_f64 v[26:27], -v[22:23], v[24:25], 1.0
	v_fma_f64 v[24:25], v[24:25], v[26:27], v[24:25]
	v_fma_f64 v[26:27], -v[22:23], v[24:25], 1.0
	v_fma_f64 v[24:25], v[24:25], v[26:27], v[24:25]
	v_div_scale_f64 v[26:27], vcc_lo, 1.0, v[10:11], 1.0
	v_mul_f64 v[28:29], v[26:27], v[24:25]
	v_fma_f64 v[22:23], -v[22:23], v[28:29], v[26:27]
	v_div_fmas_f64 v[22:23], v[22:23], v[24:25], v[28:29]
	v_div_fixup_f64 v[10:11], v[22:23], v[10:11], 1.0
	v_mul_f64 v[8:9], v[8:9], v[10:11]
	s_cbranch_execz .LBB42_96
	s_branch .LBB42_97
.LBB42_93:                              ;   in Loop: Header=BB42_11 Depth=1
	v_mov_b32_e32 v10, 0
	v_mov_b32_e32 v11, 0x3ff00000
	s_branch .LBB42_97
.LBB42_94:                              ;   in Loop: Header=BB42_11 Depth=1
	v_mov_b32_e32 v10, 0
	v_mov_b32_e32 v8, 0
	;; [unrolled: 1-line block ×4, first 2 shown]
	s_branch .LBB42_97
.LBB42_95:                              ;   in Loop: Header=BB42_11 Depth=1
                                        ; implicit-def: $vgpr10_vgpr11
                                        ; implicit-def: $vgpr8_vgpr9
.LBB42_96:                              ;   in Loop: Header=BB42_11 Depth=1
	v_div_scale_f64 v[8:9], null, v[6:7], v[6:7], -v[1:2]
	v_div_scale_f64 v[24:25], vcc_lo, -v[1:2], v[6:7], -v[1:2]
	v_rcp_f64_e32 v[10:11], v[8:9]
	v_fma_f64 v[22:23], -v[8:9], v[10:11], 1.0
	v_fma_f64 v[10:11], v[10:11], v[22:23], v[10:11]
	v_fma_f64 v[22:23], -v[8:9], v[10:11], 1.0
	v_fma_f64 v[10:11], v[10:11], v[22:23], v[10:11]
	v_mul_f64 v[22:23], v[24:25], v[10:11]
	v_fma_f64 v[8:9], -v[8:9], v[22:23], v[24:25]
	v_div_fmas_f64 v[8:9], v[8:9], v[10:11], v[22:23]
	v_div_fixup_f64 v[1:2], v[8:9], v[6:7], -v[1:2]
	v_fma_f64 v[8:9], v[1:2], v[1:2], 1.0
	v_cmp_gt_f64_e32 vcc_lo, 0x10000000, v[8:9]
	s_and_b32 s24, vcc_lo, exec_lo
	s_cselect_b32 s24, 0x100, 0
	v_ldexp_f64 v[8:9], v[8:9], s24
	s_cselect_b32 s24, 0xffffff80, 0
	v_rsq_f64_e32 v[10:11], v[8:9]
	v_cmp_class_f64_e64 vcc_lo, v[8:9], 0x260
	v_mul_f64 v[22:23], v[8:9], v[10:11]
	v_mul_f64 v[10:11], v[10:11], 0.5
	v_fma_f64 v[24:25], -v[10:11], v[22:23], 0.5
	v_fma_f64 v[22:23], v[22:23], v[24:25], v[22:23]
	v_fma_f64 v[10:11], v[10:11], v[24:25], v[10:11]
	v_fma_f64 v[24:25], -v[22:23], v[22:23], v[8:9]
	v_fma_f64 v[22:23], v[24:25], v[10:11], v[22:23]
	v_fma_f64 v[24:25], -v[22:23], v[22:23], v[8:9]
	v_fma_f64 v[10:11], v[24:25], v[10:11], v[22:23]
	v_ldexp_f64 v[10:11], v[10:11], s24
	v_cndmask_b32_e32 v9, v11, v9, vcc_lo
	v_cndmask_b32_e32 v8, v10, v8, vcc_lo
	v_div_scale_f64 v[10:11], null, v[8:9], v[8:9], 1.0
	v_rcp_f64_e32 v[22:23], v[10:11]
	v_fma_f64 v[24:25], -v[10:11], v[22:23], 1.0
	v_fma_f64 v[22:23], v[22:23], v[24:25], v[22:23]
	v_fma_f64 v[24:25], -v[10:11], v[22:23], 1.0
	v_fma_f64 v[22:23], v[22:23], v[24:25], v[22:23]
	v_div_scale_f64 v[24:25], vcc_lo, 1.0, v[8:9], 1.0
	v_mul_f64 v[26:27], v[24:25], v[22:23]
	v_fma_f64 v[10:11], -v[10:11], v[26:27], v[24:25]
	v_div_fmas_f64 v[10:11], v[10:11], v[22:23], v[26:27]
	v_div_fixup_f64 v[8:9], v[10:11], v[8:9], 1.0
	v_mul_f64 v[10:11], v[1:2], v[8:9]
.LBB42_97:                              ;   in Loop: Header=BB42_11 Depth=1
	v_mul_f64 v[1:2], v[6:7], v[10:11]
	s_lshl_b64 s[66:67], s[48:49], 3
	s_and_b32 s55, s74, s97
	s_add_u32 s24, s44, s66
	s_addc_u32 s25, s45, s67
	s_sub_u32 s68, s8, s51
	s_subb_u32 s69, s9, s53
	v_cndmask_b32_e64 v12, 0, 1, s55
	s_lshl_b64 s[70:71], s[68:69], 3
	s_add_u32 s70, s60, s70
	s_addc_u32 s71, s61, s71
	s_andn2_b32 vcc_lo, exec_lo, s55
	v_fma_f64 v[1:2], v[3:4], v[8:9], v[1:2]
	global_store_dwordx2 v5, v[1:2], s[64:65] offset:-8
	global_load_dwordx2 v[1:2], v5, s[70:71] offset:-8
	s_waitcnt vmcnt(0)
	v_mul_f64 v[22:23], v[10:11], v[1:2]
	global_store_dwordx2 v5, v[22:23], s[70:71] offset:-8
	s_cbranch_vccnz .LBB42_99
; %bb.98:                               ;   in Loop: Header=BB42_11 Depth=1
	s_add_u32 s82, s24, s62
	s_addc_u32 s83, s25, s63
	s_ashr_i32 s55, s54, 31
	s_lshl_b64 s[88:89], s[54:55], 3
	s_add_u32 s88, s82, s88
	s_addc_u32 s89, s83, s89
	global_store_dwordx2 v5, v[10:11], s[82:83] offset:24
	global_store_dwordx2 v5, v[8:9], s[88:89] offset:24
.LBB42_99:                              ;   in Loop: Header=BB42_11 Depth=1
	s_cmp_lg_u32 s8, 1
	s_cselect_b32 s57, -1, 0
	s_cmp_eq_u32 s8, 1
	s_cselect_b32 s51, -1, 0
	s_or_b32 s53, s78, s51
	s_and_b32 vcc_lo, exec_lo, s53
	s_cbranch_vccnz .LBB42_101
; %bb.100:                              ;   in Loop: Header=BB42_11 Depth=1
	s_ashr_i32 s51, s23, 31
	s_add_u32 s82, s58, s23
	s_addc_u32 s83, s59, s51
	s_lshl_b64 s[82:83], s[82:83], 3
	s_add_u32 s82, s24, s82
	s_addc_u32 s83, s25, s83
	s_ashr_i32 s55, s54, 31
	s_lshl_b64 s[88:89], s[54:55], 3
	s_add_u32 s88, s82, s88
	s_addc_u32 s89, s83, s89
	global_store_dwordx2 v5, v[10:11], s[82:83] offset:24
	global_store_dwordx2 v5, v[8:9], s[88:89] offset:24
.LBB42_101:                             ;   in Loop: Header=BB42_11 Depth=1
	v_mul_f64 v[1:2], v[1:2], -v[8:9]
	v_mul_f64 v[6:7], v[6:7], v[8:9]
	v_cmp_eq_f64_e32 vcc_lo, 0, v[1:2]
	v_fma_f64 v[3:4], v[3:4], v[10:11], -v[6:7]
	s_cbranch_vccnz .LBB42_105
; %bb.102:                              ;   in Loop: Header=BB42_11 Depth=1
	v_cmp_eq_f64_e32 vcc_lo, 0, v[3:4]
	s_cbranch_vccnz .LBB42_106
; %bb.103:                              ;   in Loop: Header=BB42_11 Depth=1
	v_cmp_gt_f64_e64 s51, |v[1:2]|, |v[3:4]|
	s_and_b32 vcc_lo, exec_lo, s51
	s_cbranch_vccnz .LBB42_107
; %bb.104:                              ;   in Loop: Header=BB42_11 Depth=1
	v_div_scale_f64 v[6:7], null, v[3:4], v[3:4], -v[1:2]
	v_div_scale_f64 v[22:23], vcc_lo, -v[1:2], v[3:4], -v[1:2]
	v_rcp_f64_e32 v[8:9], v[6:7]
	v_fma_f64 v[10:11], -v[6:7], v[8:9], 1.0
	v_fma_f64 v[8:9], v[8:9], v[10:11], v[8:9]
	v_fma_f64 v[10:11], -v[6:7], v[8:9], 1.0
	v_fma_f64 v[8:9], v[8:9], v[10:11], v[8:9]
	v_mul_f64 v[10:11], v[22:23], v[8:9]
	v_fma_f64 v[6:7], -v[6:7], v[10:11], v[22:23]
	v_div_fmas_f64 v[6:7], v[6:7], v[8:9], v[10:11]
	v_div_fixup_f64 v[8:9], v[6:7], v[3:4], -v[1:2]
	v_fma_f64 v[6:7], v[8:9], v[8:9], 1.0
	v_cmp_gt_f64_e32 vcc_lo, 0x10000000, v[6:7]
	s_and_b32 s51, vcc_lo, exec_lo
	s_cselect_b32 s51, 0x100, 0
	v_ldexp_f64 v[6:7], v[6:7], s51
	s_cselect_b32 s51, 0xffffff80, 0
	v_rsq_f64_e32 v[10:11], v[6:7]
	v_cmp_class_f64_e64 vcc_lo, v[6:7], 0x260
	v_mul_f64 v[22:23], v[6:7], v[10:11]
	v_mul_f64 v[10:11], v[10:11], 0.5
	v_fma_f64 v[24:25], -v[10:11], v[22:23], 0.5
	v_fma_f64 v[22:23], v[22:23], v[24:25], v[22:23]
	v_fma_f64 v[10:11], v[10:11], v[24:25], v[10:11]
	v_fma_f64 v[24:25], -v[22:23], v[22:23], v[6:7]
	v_fma_f64 v[22:23], v[24:25], v[10:11], v[22:23]
	v_fma_f64 v[24:25], -v[22:23], v[22:23], v[6:7]
	v_fma_f64 v[10:11], v[24:25], v[10:11], v[22:23]
	v_ldexp_f64 v[10:11], v[10:11], s51
	v_cndmask_b32_e32 v7, v11, v7, vcc_lo
	v_cndmask_b32_e32 v6, v10, v6, vcc_lo
	v_div_scale_f64 v[10:11], null, v[6:7], v[6:7], 1.0
	v_rcp_f64_e32 v[22:23], v[10:11]
	v_fma_f64 v[24:25], -v[10:11], v[22:23], 1.0
	v_fma_f64 v[22:23], v[22:23], v[24:25], v[22:23]
	v_fma_f64 v[24:25], -v[10:11], v[22:23], 1.0
	v_fma_f64 v[22:23], v[22:23], v[24:25], v[22:23]
	v_div_scale_f64 v[24:25], vcc_lo, 1.0, v[6:7], 1.0
	v_mul_f64 v[26:27], v[24:25], v[22:23]
	v_fma_f64 v[10:11], -v[10:11], v[26:27], v[24:25]
	v_div_fmas_f64 v[10:11], v[10:11], v[22:23], v[26:27]
	v_div_fixup_f64 v[6:7], v[10:11], v[6:7], 1.0
	v_mul_f64 v[8:9], v[8:9], v[6:7]
	s_cbranch_execz .LBB42_108
	s_branch .LBB42_109
.LBB42_105:                             ;   in Loop: Header=BB42_11 Depth=1
	v_mov_b32_e32 v6, 0
	v_mov_b32_e32 v8, 0
	;; [unrolled: 1-line block ×4, first 2 shown]
	s_branch .LBB42_111
.LBB42_106:                             ;   in Loop: Header=BB42_11 Depth=1
	v_xor_b32_e32 v4, 0x80000000, v2
	v_mov_b32_e32 v3, v1
                                        ; implicit-def: $vgpr6_vgpr7
                                        ; implicit-def: $vgpr8_vgpr9
	s_cbranch_execnz .LBB42_110
	s_branch .LBB42_111
.LBB42_107:                             ;   in Loop: Header=BB42_11 Depth=1
                                        ; implicit-def: $vgpr6_vgpr7
                                        ; implicit-def: $vgpr8_vgpr9
.LBB42_108:                             ;   in Loop: Header=BB42_11 Depth=1
	v_div_scale_f64 v[6:7], null, v[1:2], v[1:2], -v[3:4]
	v_div_scale_f64 v[22:23], vcc_lo, -v[3:4], v[1:2], -v[3:4]
	v_rcp_f64_e32 v[8:9], v[6:7]
	v_fma_f64 v[10:11], -v[6:7], v[8:9], 1.0
	v_fma_f64 v[8:9], v[8:9], v[10:11], v[8:9]
	v_fma_f64 v[10:11], -v[6:7], v[8:9], 1.0
	v_fma_f64 v[8:9], v[8:9], v[10:11], v[8:9]
	v_mul_f64 v[10:11], v[22:23], v[8:9]
	v_fma_f64 v[6:7], -v[6:7], v[10:11], v[22:23]
	v_div_fmas_f64 v[6:7], v[6:7], v[8:9], v[10:11]
	v_div_fixup_f64 v[6:7], v[6:7], v[1:2], -v[3:4]
	v_fma_f64 v[8:9], v[6:7], v[6:7], 1.0
	v_cmp_gt_f64_e32 vcc_lo, 0x10000000, v[8:9]
	s_and_b32 s51, vcc_lo, exec_lo
	s_cselect_b32 s51, 0x100, 0
	v_ldexp_f64 v[8:9], v[8:9], s51
	s_cselect_b32 s51, 0xffffff80, 0
	v_rsq_f64_e32 v[10:11], v[8:9]
	v_cmp_class_f64_e64 vcc_lo, v[8:9], 0x260
	v_mul_f64 v[22:23], v[8:9], v[10:11]
	v_mul_f64 v[10:11], v[10:11], 0.5
	v_fma_f64 v[24:25], -v[10:11], v[22:23], 0.5
	v_fma_f64 v[22:23], v[22:23], v[24:25], v[22:23]
	v_fma_f64 v[10:11], v[10:11], v[24:25], v[10:11]
	v_fma_f64 v[24:25], -v[22:23], v[22:23], v[8:9]
	v_fma_f64 v[22:23], v[24:25], v[10:11], v[22:23]
	v_fma_f64 v[24:25], -v[22:23], v[22:23], v[8:9]
	v_fma_f64 v[10:11], v[24:25], v[10:11], v[22:23]
	v_ldexp_f64 v[10:11], v[10:11], s51
	v_cndmask_b32_e32 v9, v11, v9, vcc_lo
	v_cndmask_b32_e32 v8, v10, v8, vcc_lo
	v_div_scale_f64 v[10:11], null, v[8:9], v[8:9], 1.0
	v_rcp_f64_e32 v[22:23], v[10:11]
	v_fma_f64 v[24:25], -v[10:11], v[22:23], 1.0
	v_fma_f64 v[22:23], v[22:23], v[24:25], v[22:23]
	v_fma_f64 v[24:25], -v[10:11], v[22:23], 1.0
	v_fma_f64 v[22:23], v[22:23], v[24:25], v[22:23]
	v_div_scale_f64 v[24:25], vcc_lo, 1.0, v[8:9], 1.0
	v_mul_f64 v[26:27], v[24:25], v[22:23]
	v_fma_f64 v[10:11], -v[10:11], v[26:27], v[24:25]
	v_div_fmas_f64 v[10:11], v[10:11], v[22:23], v[26:27]
	v_div_fixup_f64 v[8:9], v[10:11], v[8:9], 1.0
	v_mul_f64 v[6:7], v[6:7], v[8:9]
.LBB42_109:                             ;   in Loop: Header=BB42_11 Depth=1
	v_mul_f64 v[10:11], v[1:2], v[8:9]
	v_fma_f64 v[3:4], v[3:4], v[6:7], -v[10:11]
	s_branch .LBB42_111
.LBB42_110:                             ;   in Loop: Header=BB42_11 Depth=1
	v_mov_b32_e32 v6, 0
	v_mov_b32_e32 v8, 0
	;; [unrolled: 1-line block ×4, first 2 shown]
.LBB42_111:                             ;   in Loop: Header=BB42_11 Depth=1
	global_store_dwordx2 v5, v[3:4], s[60:61]
	s_clause 0x1
	global_load_dwordx2 v[10:11], v5, s[70:71] offset:-8
	global_load_dwordx2 v[3:4], v5, s[64:65] offset:-8
	s_cmp_eq_u32 s54, 2
	s_waitcnt vmcnt(1)
	v_mul_f64 v[22:23], v[6:7], v[10:11]
	s_waitcnt vmcnt(0)
	v_fma_f64 v[22:23], v[8:9], v[3:4], v[22:23]
	global_store_dwordx2 v5, v[22:23], s[70:71] offset:-8
	s_cbranch_scc0 .LBB42_169
; %bb.112:                              ;   in Loop: Header=BB42_11 Depth=1
	s_and_b32 s51, s74, s57
	v_cndmask_b32_e64 v22, 0, 1, s51
	s_andn2_b32 vcc_lo, exec_lo, s51
	s_cbranch_vccz .LBB42_170
.LBB42_113:                             ;   in Loop: Header=BB42_11 Depth=1
	s_xor_b32 s51, s97, -1
	s_or_b32 s57, s78, s51
	s_and_b32 vcc_lo, exec_lo, s57
	s_cbranch_vccnz .LBB42_115
.LBB42_114:                             ;   in Loop: Header=BB42_11 Depth=1
	s_ashr_i32 s51, s23, 31
	s_add_u32 s58, s58, s23
	s_addc_u32 s59, s59, s51
	s_lshl_b64 s[58:59], s[58:59], 3
	s_add_u32 s24, s24, s58
	s_addc_u32 s25, s25, s59
	s_ashr_i32 s55, s54, 31
	s_lshl_b64 s[58:59], s[54:55], 3
	s_add_u32 s58, s24, s58
	s_addc_u32 s59, s25, s59
	global_store_dwordx2 v5, v[6:7], s[24:25] offset:24
	global_store_dwordx2 v5, v[8:9], s[58:59] offset:24
.LBB42_115:                             ;   in Loop: Header=BB42_11 Depth=1
	v_mul_f64 v[8:9], v[8:9], v[10:11]
	s_cmp_eq_u32 s22, 1
	s_mov_b32 s51, 0
	v_fma_f64 v[3:4], v[6:7], v[3:4], -v[8:9]
	s_cbranch_scc1 .LBB42_148
; %bb.116:                              ;   in Loop: Header=BB42_11 Depth=1
	s_lshl_b64 s[60:61], s[8:9], 4
	s_xor_b32 s62, s53, -1
	s_xor_b32 s63, s57, -1
	s_add_i32 s24, s56, s50
	s_add_i32 s51, s22, -1
	s_sub_i32 s58, s56, s52
	s_ashr_i32 s53, s23, 31
	s_ashr_i32 s55, s54, 31
	s_add_u32 s82, s60, s46
	s_addc_u32 s83, s61, s47
	s_ashr_i32 s25, s24, 31
	v_readlane_b32 s57, v40, 2
	s_lshl_b64 s[24:25], s[24:25], 3
	s_mov_b32 vcc_hi, 1
	s_add_u32 s9, s82, s24
	s_addc_u32 s56, s83, s25
	s_add_u32 s9, s57, s9
	v_readlane_b32 s57, v40, 3
	s_addc_u32 s64, s57, s56
	s_lshl_b32 s56, s8, 1
	s_add_i32 s56, s56, -2
	s_ashr_i32 s57, s56, 31
	s_lshl_b64 s[56:57], s[56:57], 3
	s_or_b32 s56, s56, 8
	s_add_u32 s24, s46, s24
	s_addc_u32 s25, s47, s25
	s_add_u32 s65, s36, s24
	s_addc_u32 s70, s40, s25
	;; [unrolled: 2-line block ×3, first 2 shown]
	s_ashr_i32 s59, s58, 31
	s_add_u32 s24, s24, s58
	s_addc_u32 s25, s25, s59
	s_lshl_b64 s[24:25], s[24:25], 3
	s_add_u32 s53, s24, s66
	s_addc_u32 s88, s25, s67
	s_lshl_b64 s[24:25], s[54:55], 3
	s_add_u32 s54, s53, s24
	s_addc_u32 s55, s88, s25
	s_add_u32 s68, s86, s54
	s_addc_u32 s69, s87, s55
	;; [unrolled: 2-line block ×4, first 2 shown]
	s_lshl_b64 s[54:55], s[58:59], 3
	s_add_u32 s53, s53, s54
	s_addc_u32 s60, s60, s55
	s_add_u32 s24, s53, s24
	s_addc_u32 s25, s60, s25
	;; [unrolled: 2-line block ×6, first 2 shown]
	s_mul_i32 s53, s8, 24
	s_lshl_b64 s[24:25], s[24:25], 3
	s_mul_hi_i32 s58, s8, 24
	s_add_u32 s59, s53, s24
	s_addc_u32 s58, s58, s25
	s_ashr_i32 s53, s52, 31
	s_lshl_b64 s[24:25], s[52:53], 3
	v_readlane_b32 s52, v40, 4
	s_sub_u32 s24, s59, s24
	s_subb_u32 s25, s58, s25
	v_readlane_b32 s58, v40, 6
	s_add_u32 s24, s52, s24
	v_readlane_b32 s52, v40, 5
	s_addc_u32 s25, s52, s25
	s_add_u32 s52, s82, s54
	s_addc_u32 s53, s83, s55
	s_add_u32 s82, s58, s52
	v_readlane_b32 s52, v40, 7
	s_addc_u32 s83, s52, s53
	s_add_u32 s52, s46, s54
	s_addc_u32 s53, s47, s55
	s_add_u32 s88, s72, s52
	s_addc_u32 s89, s73, s53
	s_mov_b64 s[52:53], 0
	s_branch .LBB42_118
.LBB42_117:                             ;   in Loop: Header=BB42_118 Depth=2
	v_mul_f64 v[8:9], v[8:9], v[10:11]
	s_add_i32 vcc_hi, vcc_hi, 1
	s_add_u32 s52, s52, s56
	s_addc_u32 s53, s53, s57
	s_cmp_eq_u32 s22, vcc_hi
	v_fma_f64 v[3:4], v[6:7], v[3:4], -v[8:9]
	s_cbranch_scc1 .LBB42_148
.LBB42_118:                             ;   Parent Loop BB42_11 Depth=1
                                        ; =>  This Inner Loop Header: Depth=2
	v_cmp_eq_f64_e32 vcc_lo, 0, v[1:2]
	s_cbranch_vccnz .LBB42_122
; %bb.119:                              ;   in Loop: Header=BB42_118 Depth=2
	v_cmp_neq_f64_e32 vcc_lo, 0, v[3:4]
	s_cbranch_vccz .LBB42_123
; %bb.120:                              ;   in Loop: Header=BB42_118 Depth=2
	v_cmp_ngt_f64_e64 s54, |v[1:2]|, |v[3:4]|
	s_and_b32 vcc_lo, exec_lo, s54
	s_cbranch_vccz .LBB42_124
; %bb.121:                              ;   in Loop: Header=BB42_118 Depth=2
	v_div_scale_f64 v[6:7], null, v[3:4], v[3:4], -v[1:2]
	v_div_scale_f64 v[23:24], vcc_lo, -v[1:2], v[3:4], -v[1:2]
	v_rcp_f64_e32 v[8:9], v[6:7]
	v_fma_f64 v[10:11], -v[6:7], v[8:9], 1.0
	v_fma_f64 v[8:9], v[8:9], v[10:11], v[8:9]
	v_fma_f64 v[10:11], -v[6:7], v[8:9], 1.0
	v_fma_f64 v[8:9], v[8:9], v[10:11], v[8:9]
	v_mul_f64 v[10:11], v[23:24], v[8:9]
	v_fma_f64 v[6:7], -v[6:7], v[10:11], v[23:24]
	v_div_fmas_f64 v[6:7], v[6:7], v[8:9], v[10:11]
	v_div_fixup_f64 v[8:9], v[6:7], v[3:4], -v[1:2]
	v_fma_f64 v[6:7], v[8:9], v[8:9], 1.0
	v_cmp_gt_f64_e32 vcc_lo, 0x10000000, v[6:7]
	s_and_b32 s54, vcc_lo, exec_lo
	s_cselect_b32 s54, 0x100, 0
	v_ldexp_f64 v[6:7], v[6:7], s54
	s_cselect_b32 s54, 0xffffff80, 0
	v_rsq_f64_e32 v[10:11], v[6:7]
	v_cmp_class_f64_e64 vcc_lo, v[6:7], 0x260
	v_mul_f64 v[23:24], v[6:7], v[10:11]
	v_mul_f64 v[10:11], v[10:11], 0.5
	v_fma_f64 v[25:26], -v[10:11], v[23:24], 0.5
	v_fma_f64 v[23:24], v[23:24], v[25:26], v[23:24]
	v_fma_f64 v[10:11], v[10:11], v[25:26], v[10:11]
	v_fma_f64 v[25:26], -v[23:24], v[23:24], v[6:7]
	v_fma_f64 v[23:24], v[25:26], v[10:11], v[23:24]
	v_fma_f64 v[25:26], -v[23:24], v[23:24], v[6:7]
	v_fma_f64 v[10:11], v[25:26], v[10:11], v[23:24]
	v_ldexp_f64 v[10:11], v[10:11], s54
	v_cndmask_b32_e32 v7, v11, v7, vcc_lo
	v_cndmask_b32_e32 v6, v10, v6, vcc_lo
	v_div_scale_f64 v[10:11], null, v[6:7], v[6:7], 1.0
	v_rcp_f64_e32 v[23:24], v[10:11]
	v_fma_f64 v[25:26], -v[10:11], v[23:24], 1.0
	v_fma_f64 v[23:24], v[23:24], v[25:26], v[23:24]
	v_fma_f64 v[25:26], -v[10:11], v[23:24], 1.0
	v_fma_f64 v[23:24], v[23:24], v[25:26], v[23:24]
	v_div_scale_f64 v[25:26], vcc_lo, 1.0, v[6:7], 1.0
	v_mul_f64 v[27:28], v[25:26], v[23:24]
	v_fma_f64 v[10:11], -v[10:11], v[27:28], v[25:26]
	v_div_fmas_f64 v[10:11], v[10:11], v[23:24], v[27:28]
	v_div_fixup_f64 v[6:7], v[10:11], v[6:7], 1.0
	v_mul_f64 v[8:9], v[8:9], v[6:7]
	s_cbranch_execz .LBB42_125
	s_branch .LBB42_126
.LBB42_122:                             ;   in Loop: Header=BB42_118 Depth=2
	v_mov_b32_e32 v6, 0
	v_mov_b32_e32 v8, 0
	v_mov_b32_e32 v7, 0x3ff00000
	v_mov_b32_e32 v9, 0
	s_branch .LBB42_128
.LBB42_123:                             ;   in Loop: Header=BB42_118 Depth=2
	v_xor_b32_e32 v2, 0x80000000, v2
                                        ; implicit-def: $vgpr6_vgpr7
                                        ; implicit-def: $vgpr8_vgpr9
	v_mov_b32_e32 v4, v2
	v_mov_b32_e32 v3, v1
	s_cbranch_execnz .LBB42_127
	s_branch .LBB42_128
.LBB42_124:                             ;   in Loop: Header=BB42_118 Depth=2
                                        ; implicit-def: $vgpr6_vgpr7
                                        ; implicit-def: $vgpr8_vgpr9
.LBB42_125:                             ;   in Loop: Header=BB42_118 Depth=2
	v_div_scale_f64 v[6:7], null, v[1:2], v[1:2], -v[3:4]
	v_div_scale_f64 v[23:24], vcc_lo, -v[3:4], v[1:2], -v[3:4]
	v_rcp_f64_e32 v[8:9], v[6:7]
	v_fma_f64 v[10:11], -v[6:7], v[8:9], 1.0
	v_fma_f64 v[8:9], v[8:9], v[10:11], v[8:9]
	v_fma_f64 v[10:11], -v[6:7], v[8:9], 1.0
	v_fma_f64 v[8:9], v[8:9], v[10:11], v[8:9]
	v_mul_f64 v[10:11], v[23:24], v[8:9]
	v_fma_f64 v[6:7], -v[6:7], v[10:11], v[23:24]
	v_div_fmas_f64 v[6:7], v[6:7], v[8:9], v[10:11]
	v_div_fixup_f64 v[6:7], v[6:7], v[1:2], -v[3:4]
	v_fma_f64 v[8:9], v[6:7], v[6:7], 1.0
	v_cmp_gt_f64_e32 vcc_lo, 0x10000000, v[8:9]
	s_and_b32 s54, vcc_lo, exec_lo
	s_cselect_b32 s54, 0x100, 0
	v_ldexp_f64 v[8:9], v[8:9], s54
	s_cselect_b32 s54, 0xffffff80, 0
	v_rsq_f64_e32 v[10:11], v[8:9]
	v_cmp_class_f64_e64 vcc_lo, v[8:9], 0x260
	v_mul_f64 v[23:24], v[8:9], v[10:11]
	v_mul_f64 v[10:11], v[10:11], 0.5
	v_fma_f64 v[25:26], -v[10:11], v[23:24], 0.5
	v_fma_f64 v[23:24], v[23:24], v[25:26], v[23:24]
	v_fma_f64 v[10:11], v[10:11], v[25:26], v[10:11]
	v_fma_f64 v[25:26], -v[23:24], v[23:24], v[8:9]
	v_fma_f64 v[23:24], v[25:26], v[10:11], v[23:24]
	v_fma_f64 v[25:26], -v[23:24], v[23:24], v[8:9]
	v_fma_f64 v[10:11], v[25:26], v[10:11], v[23:24]
	v_ldexp_f64 v[10:11], v[10:11], s54
	v_cndmask_b32_e32 v9, v11, v9, vcc_lo
	v_cndmask_b32_e32 v8, v10, v8, vcc_lo
	v_div_scale_f64 v[10:11], null, v[8:9], v[8:9], 1.0
	v_rcp_f64_e32 v[23:24], v[10:11]
	v_fma_f64 v[25:26], -v[10:11], v[23:24], 1.0
	v_fma_f64 v[23:24], v[23:24], v[25:26], v[23:24]
	v_fma_f64 v[25:26], -v[10:11], v[23:24], 1.0
	v_fma_f64 v[23:24], v[23:24], v[25:26], v[23:24]
	v_div_scale_f64 v[25:26], vcc_lo, 1.0, v[8:9], 1.0
	v_mul_f64 v[27:28], v[25:26], v[23:24]
	v_fma_f64 v[10:11], -v[10:11], v[27:28], v[25:26]
	v_div_fmas_f64 v[10:11], v[10:11], v[23:24], v[27:28]
	v_div_fixup_f64 v[8:9], v[10:11], v[8:9], 1.0
	v_mul_f64 v[6:7], v[6:7], v[8:9]
.LBB42_126:                             ;   in Loop: Header=BB42_118 Depth=2
	v_mul_f64 v[1:2], v[1:2], v[8:9]
	v_fma_f64 v[3:4], v[3:4], v[6:7], -v[1:2]
	s_branch .LBB42_128
.LBB42_127:                             ;   in Loop: Header=BB42_118 Depth=2
	v_mov_b32_e32 v6, 0
	v_mov_b32_e32 v8, 0
	;; [unrolled: 1-line block ×4, first 2 shown]
.LBB42_128:                             ;   in Loop: Header=BB42_118 Depth=2
	s_add_u32 s54, s88, s52
	s_addc_u32 s55, s89, s53
	s_add_u32 s58, s65, s52
	s_addc_u32 s59, s70, s53
	global_store_dwordx2 v5, v[3:4], s[54:55]
	s_add_u32 s54, s82, s52
	s_addc_u32 s55, s83, s53
	s_clause 0x1
	global_load_dwordx2 v[3:4], v5, s[54:55]
	global_load_dwordx2 v[1:2], v5, s[58:59]
	s_add_u32 s60, s9, s52
	s_addc_u32 s61, s64, s53
	v_cmp_ne_u32_e32 vcc_lo, 1, v12
	s_and_b32 vcc_lo, exec_lo, vcc_lo
	s_waitcnt vmcnt(1)
	v_mul_f64 v[10:11], v[6:7], v[3:4]
	s_waitcnt vmcnt(0)
	v_fma_f64 v[10:11], v[8:9], v[1:2], v[10:11]
	global_store_dwordx2 v5, v[10:11], s[54:55]
	global_load_dwordx2 v[10:11], v5, s[60:61]
	s_waitcnt vmcnt(0)
	v_mul_f64 v[23:24], v[6:7], v[10:11]
	global_store_dwordx2 v5, v[23:24], s[60:61]
	s_cbranch_vccnz .LBB42_130
; %bb.129:                              ;   in Loop: Header=BB42_118 Depth=2
	s_add_u32 s90, s99, s52
	s_addc_u32 s91, s104, s53
	s_add_u32 s92, s66, s52
	s_addc_u32 s93, s67, s53
	global_store_dwordx2 v5, v[6:7], s[90:91]
	global_store_dwordx2 v5, v[8:9], s[92:93]
.LBB42_130:                             ;   in Loop: Header=BB42_118 Depth=2
	s_andn2_b32 vcc_lo, exec_lo, s62
	s_cbranch_vccnz .LBB42_132
; %bb.131:                              ;   in Loop: Header=BB42_118 Depth=2
	s_add_u32 s90, s71, s52
	s_addc_u32 s91, s98, s53
	s_add_u32 s92, s68, s52
	s_addc_u32 s93, s69, s53
	global_store_dwordx2 v5, v[6:7], s[90:91]
	global_store_dwordx2 v5, v[8:9], s[92:93]
.LBB42_132:                             ;   in Loop: Header=BB42_118 Depth=2
	v_mul_f64 v[3:4], v[8:9], v[3:4]
	v_fma_f64 v[3:4], v[6:7], v[1:2], -v[3:4]
	v_mul_f64 v[1:2], v[10:11], -v[8:9]
	v_cmp_eq_f64_e32 vcc_lo, 0, v[1:2]
	s_cbranch_vccnz .LBB42_136
; %bb.133:                              ;   in Loop: Header=BB42_118 Depth=2
	v_cmp_neq_f64_e32 vcc_lo, 0, v[3:4]
	s_cbranch_vccz .LBB42_137
; %bb.134:                              ;   in Loop: Header=BB42_118 Depth=2
	v_cmp_ngt_f64_e64 s90, |v[1:2]|, |v[3:4]|
	s_and_b32 vcc_lo, exec_lo, s90
	s_cbranch_vccz .LBB42_138
; %bb.135:                              ;   in Loop: Header=BB42_118 Depth=2
	v_div_scale_f64 v[6:7], null, v[3:4], v[3:4], -v[1:2]
	v_rcp_f64_e32 v[8:9], v[6:7]
	v_fma_f64 v[10:11], -v[6:7], v[8:9], 1.0
	v_fma_f64 v[8:9], v[8:9], v[10:11], v[8:9]
	v_fma_f64 v[10:11], -v[6:7], v[8:9], 1.0
	v_fma_f64 v[8:9], v[8:9], v[10:11], v[8:9]
	v_div_scale_f64 v[10:11], vcc_lo, -v[1:2], v[3:4], -v[1:2]
	v_mul_f64 v[23:24], v[10:11], v[8:9]
	v_fma_f64 v[6:7], -v[6:7], v[23:24], v[10:11]
	v_div_fmas_f64 v[6:7], v[6:7], v[8:9], v[23:24]
	v_div_fixup_f64 v[8:9], v[6:7], v[3:4], -v[1:2]
	v_fma_f64 v[6:7], v[8:9], v[8:9], 1.0
	v_cmp_gt_f64_e32 vcc_lo, 0x10000000, v[6:7]
	s_and_b32 s90, vcc_lo, exec_lo
	s_cselect_b32 s90, 0x100, 0
	v_ldexp_f64 v[6:7], v[6:7], s90
	s_cselect_b32 s90, 0xffffff80, 0
	v_rsq_f64_e32 v[10:11], v[6:7]
	v_cmp_class_f64_e64 vcc_lo, v[6:7], 0x260
	v_mul_f64 v[23:24], v[6:7], v[10:11]
	v_mul_f64 v[10:11], v[10:11], 0.5
	v_fma_f64 v[25:26], -v[10:11], v[23:24], 0.5
	v_fma_f64 v[23:24], v[23:24], v[25:26], v[23:24]
	v_fma_f64 v[10:11], v[10:11], v[25:26], v[10:11]
	v_fma_f64 v[25:26], -v[23:24], v[23:24], v[6:7]
	v_fma_f64 v[23:24], v[25:26], v[10:11], v[23:24]
	v_fma_f64 v[25:26], -v[23:24], v[23:24], v[6:7]
	v_fma_f64 v[10:11], v[25:26], v[10:11], v[23:24]
	v_ldexp_f64 v[10:11], v[10:11], s90
	v_cndmask_b32_e32 v7, v11, v7, vcc_lo
	v_cndmask_b32_e32 v6, v10, v6, vcc_lo
	v_div_scale_f64 v[10:11], null, v[6:7], v[6:7], 1.0
	v_rcp_f64_e32 v[23:24], v[10:11]
	v_fma_f64 v[25:26], -v[10:11], v[23:24], 1.0
	v_fma_f64 v[23:24], v[23:24], v[25:26], v[23:24]
	v_fma_f64 v[25:26], -v[10:11], v[23:24], 1.0
	v_fma_f64 v[23:24], v[23:24], v[25:26], v[23:24]
	v_div_scale_f64 v[25:26], vcc_lo, 1.0, v[6:7], 1.0
	v_mul_f64 v[27:28], v[25:26], v[23:24]
	v_fma_f64 v[10:11], -v[10:11], v[27:28], v[25:26]
	v_div_fmas_f64 v[10:11], v[10:11], v[23:24], v[27:28]
	v_div_fixup_f64 v[6:7], v[10:11], v[6:7], 1.0
	v_mul_f64 v[8:9], v[8:9], v[6:7]
	s_cbranch_execz .LBB42_139
	s_branch .LBB42_140
.LBB42_136:                             ;   in Loop: Header=BB42_118 Depth=2
	v_mov_b32_e32 v6, 0
	v_mov_b32_e32 v8, 0
	;; [unrolled: 1-line block ×4, first 2 shown]
	s_branch .LBB42_142
.LBB42_137:                             ;   in Loop: Header=BB42_118 Depth=2
	v_xor_b32_e32 v4, 0x80000000, v2
	v_mov_b32_e32 v3, v1
                                        ; implicit-def: $vgpr6_vgpr7
                                        ; implicit-def: $vgpr8_vgpr9
	s_cbranch_execnz .LBB42_141
	s_branch .LBB42_142
.LBB42_138:                             ;   in Loop: Header=BB42_118 Depth=2
                                        ; implicit-def: $vgpr6_vgpr7
                                        ; implicit-def: $vgpr8_vgpr9
.LBB42_139:                             ;   in Loop: Header=BB42_118 Depth=2
	v_div_scale_f64 v[6:7], null, v[1:2], v[1:2], -v[3:4]
	v_rcp_f64_e32 v[8:9], v[6:7]
	v_fma_f64 v[10:11], -v[6:7], v[8:9], 1.0
	v_fma_f64 v[8:9], v[8:9], v[10:11], v[8:9]
	v_fma_f64 v[10:11], -v[6:7], v[8:9], 1.0
	v_fma_f64 v[8:9], v[8:9], v[10:11], v[8:9]
	v_div_scale_f64 v[10:11], vcc_lo, -v[3:4], v[1:2], -v[3:4]
	v_mul_f64 v[23:24], v[10:11], v[8:9]
	v_fma_f64 v[6:7], -v[6:7], v[23:24], v[10:11]
	v_div_fmas_f64 v[6:7], v[6:7], v[8:9], v[23:24]
	v_div_fixup_f64 v[6:7], v[6:7], v[1:2], -v[3:4]
	v_fma_f64 v[8:9], v[6:7], v[6:7], 1.0
	v_cmp_gt_f64_e32 vcc_lo, 0x10000000, v[8:9]
	s_and_b32 s90, vcc_lo, exec_lo
	s_cselect_b32 s90, 0x100, 0
	v_ldexp_f64 v[8:9], v[8:9], s90
	s_cselect_b32 s90, 0xffffff80, 0
	v_rsq_f64_e32 v[10:11], v[8:9]
	v_cmp_class_f64_e64 vcc_lo, v[8:9], 0x260
	v_mul_f64 v[23:24], v[8:9], v[10:11]
	v_mul_f64 v[10:11], v[10:11], 0.5
	v_fma_f64 v[25:26], -v[10:11], v[23:24], 0.5
	v_fma_f64 v[23:24], v[23:24], v[25:26], v[23:24]
	v_fma_f64 v[10:11], v[10:11], v[25:26], v[10:11]
	v_fma_f64 v[25:26], -v[23:24], v[23:24], v[8:9]
	v_fma_f64 v[23:24], v[25:26], v[10:11], v[23:24]
	v_fma_f64 v[25:26], -v[23:24], v[23:24], v[8:9]
	v_fma_f64 v[10:11], v[25:26], v[10:11], v[23:24]
	v_ldexp_f64 v[10:11], v[10:11], s90
	v_cndmask_b32_e32 v9, v11, v9, vcc_lo
	v_cndmask_b32_e32 v8, v10, v8, vcc_lo
	v_div_scale_f64 v[10:11], null, v[8:9], v[8:9], 1.0
	v_rcp_f64_e32 v[23:24], v[10:11]
	v_fma_f64 v[25:26], -v[10:11], v[23:24], 1.0
	v_fma_f64 v[23:24], v[23:24], v[25:26], v[23:24]
	v_fma_f64 v[25:26], -v[10:11], v[23:24], 1.0
	v_fma_f64 v[23:24], v[23:24], v[25:26], v[23:24]
	v_div_scale_f64 v[25:26], vcc_lo, 1.0, v[8:9], 1.0
	v_mul_f64 v[27:28], v[25:26], v[23:24]
	v_fma_f64 v[10:11], -v[10:11], v[27:28], v[25:26]
	v_div_fmas_f64 v[10:11], v[10:11], v[23:24], v[27:28]
	v_div_fixup_f64 v[8:9], v[10:11], v[8:9], 1.0
	v_mul_f64 v[6:7], v[6:7], v[8:9]
.LBB42_140:                             ;   in Loop: Header=BB42_118 Depth=2
	v_mul_f64 v[10:11], v[1:2], v[8:9]
	v_fma_f64 v[3:4], v[3:4], v[6:7], -v[10:11]
	s_branch .LBB42_142
.LBB42_141:                             ;   in Loop: Header=BB42_118 Depth=2
	v_mov_b32_e32 v6, 0
	v_mov_b32_e32 v8, 0
	;; [unrolled: 1-line block ×4, first 2 shown]
.LBB42_142:                             ;   in Loop: Header=BB42_118 Depth=2
	global_store_dwordx2 v5, v[3:4], s[58:59]
	s_clause 0x1
	global_load_dwordx2 v[10:11], v5, s[60:61]
	global_load_dwordx2 v[3:4], v5, s[54:55]
	s_cmp_ge_i32 vcc_hi, s51
	s_waitcnt vmcnt(1)
	v_mul_f64 v[23:24], v[6:7], v[10:11]
	s_waitcnt vmcnt(0)
	v_fma_f64 v[23:24], v[8:9], v[3:4], v[23:24]
	global_store_dwordx2 v5, v[23:24], s[60:61]
	s_cbranch_scc0 .LBB42_145
; %bb.143:                              ;   in Loop: Header=BB42_118 Depth=2
	v_cmp_ne_u32_e32 vcc_lo, 1, v22
	s_cbranch_vccz .LBB42_146
.LBB42_144:                             ;   in Loop: Header=BB42_118 Depth=2
	s_andn2_b32 vcc_lo, exec_lo, s63
	s_cbranch_vccnz .LBB42_117
	s_branch .LBB42_147
.LBB42_145:                             ;   in Loop: Header=BB42_118 Depth=2
	s_add_u32 s54, s24, s52
	s_addc_u32 s55, s25, s53
	global_load_dwordx2 v[1:2], v5, s[54:55]
	s_waitcnt vmcnt(0)
	v_mul_f64 v[23:24], v[6:7], v[1:2]
	v_mul_f64 v[1:2], v[1:2], -v[8:9]
	global_store_dwordx2 v5, v[23:24], s[54:55]
	v_cmp_ne_u32_e32 vcc_lo, 1, v22
	s_cbranch_vccnz .LBB42_144
.LBB42_146:                             ;   in Loop: Header=BB42_118 Depth=2
	s_add_u32 s54, s99, s52
	s_addc_u32 s55, s104, s53
	s_add_u32 s58, s66, s52
	s_addc_u32 s59, s67, s53
	global_store_dwordx2 v5, v[6:7], s[54:55]
	global_store_dwordx2 v5, v[8:9], s[58:59]
	s_andn2_b32 vcc_lo, exec_lo, s63
	s_cbranch_vccnz .LBB42_117
.LBB42_147:                             ;   in Loop: Header=BB42_118 Depth=2
	s_add_u32 s54, s71, s52
	s_addc_u32 s55, s98, s53
	s_add_u32 s58, s68, s52
	s_addc_u32 s59, s69, s53
	global_store_dwordx2 v5, v[6:7], s[54:55]
	global_store_dwordx2 v5, v[8:9], s[58:59]
	s_branch .LBB42_117
.LBB42_148:                             ;   in Loop: Header=BB42_11 Depth=1
	s_and_b32 s9, s97, exec_lo
	s_cselect_b32 s24, s51, 0
	s_ashr_i32 s25, s24, 31
	s_lshl_b64 s[24:25], s[24:25], 3
	s_add_u32 s24, s12, s24
	s_addc_u32 s25, s96, s25
	global_store_dwordx2 v5, v[3:4], s[24:25]
.LBB42_149:                             ;   in Loop: Header=BB42_11 Depth=1
	s_or_b32 exec_lo, exec_lo, s29
	s_andn2_b32 vcc_lo, exec_lo, s79
	s_waitcnt_vscnt null, 0x0
	s_barrier
	buffer_gl0_inv
	s_cbranch_vccz .LBB42_152
; %bb.150:                              ;   in Loop: Header=BB42_11 Depth=1
	s_andn2_b32 vcc_lo, exec_lo, s80
	s_cbranch_vccz .LBB42_158
.LBB42_151:                             ;   in Loop: Header=BB42_11 Depth=1
	s_andn2_b32 vcc_lo, exec_lo, s81
	s_cbranch_vccnz .LBB42_10
	s_branch .LBB42_164
.LBB42_152:                             ;   in Loop: Header=BB42_11 Depth=1
	s_and_saveexec_b32 s24, s4
	s_cbranch_execz .LBB42_157
; %bb.153:                              ;   in Loop: Header=BB42_11 Depth=1
	s_load_dword s29, s[26:27], 0xc
	s_lshl_b64 s[52:53], s[30:31], 4
	v_mov_b32_e32 v22, v15
	s_add_u32 s25, s34, s52
	s_addc_u32 s51, s35, s53
	s_add_i32 s9, s22, -1
	s_cmp_eq_u32 s8, 0
	v_mov_b32_e32 v23, v0
	s_cselect_b32 s12, s22, 0
	s_cselect_b32 s54, s9, 0
	s_ashr_i32 s9, s8, 31
	s_ashr_i32 s55, s12, 31
	s_lshl_b64 s[56:57], s[8:9], 1
	v_add_nc_u32_e32 v6, s12, v15
	s_mov_b32 s60, 0
	s_waitcnt lgkmcnt(0)
	s_and_b32 s9, s29, 0xffff
	s_add_u32 s61, s56, s12
	s_addc_u32 s62, s57, s55
	s_lshl_b32 s29, s8, 1
	s_mul_i32 s67, s15, s9
	s_add_i32 s58, s29, -2
	v_readlane_b32 s29, v40, 8
	s_ashr_i32 s59, s58, 31
	s_or_b32 s63, s58, 1
	s_mov_b32 s68, s59
	s_add_u32 s64, s29, s52
	v_readlane_b32 s29, v40, 9
	s_addc_u32 s65, s29, s53
	s_ashr_i32 s29, s28, 31
	s_lshl_b64 s[52:53], s[58:59], 4
	s_lshl_b64 s[56:57], s[28:29], 3
	s_or_b32 s52, s52, 16
	s_sub_u32 s29, s56, s46
	s_subb_u32 s55, s57, s47
	s_add_u32 s29, s29, 40
	s_addc_u32 s66, s55, 0
	s_ashr_i32 s55, s54, 31
	s_lshl_b64 s[56:57], s[48:49], 3
	s_lshl_b64 s[54:55], s[54:55], 3
	s_add_u32 s54, s54, s56
	s_addc_u32 s55, s55, s57
	s_add_u32 s54, s84, s54
	s_addc_u32 s55, s85, s55
	s_lshl_b64 s[56:57], s[58:59], 3
	s_or_b32 s56, s56, 8
.LBB42_154:                             ;   Parent Loop BB42_11 Depth=1
                                        ; =>  This Loop Header: Depth=2
                                        ;       Child Loop BB42_155 Depth 3
	v_mad_u64_u32 v[1:2], null, v23, s15, s[12:13]
	v_ashrrev_i32_e32 v7, 31, v6
	v_ashrrev_i32_e32 v8, 31, v22
	s_mov_b64 s[58:59], s[54:55]
	s_mov_b32 s69, s22
	v_lshlrev_b64 v[9:10], 4, v[6:7]
	v_ashrrev_i32_e32 v2, 31, v1
	v_lshlrev_b64 v[1:2], 4, v[1:2]
	v_add_co_u32 v1, vcc_lo, s25, v1
	v_add_co_ci_u32_e64 v2, null, s51, v2, vcc_lo
	v_add_co_u32 v7, vcc_lo, s61, v22
	v_add_co_ci_u32_e64 v8, null, s62, v8, vcc_lo
	global_load_dwordx4 v[1:4], v[1:2], off
	v_add_co_u32 v9, vcc_lo, s64, v9
	v_add_co_ci_u32_e64 v10, null, s65, v10, vcc_lo
	s_inst_prefetch 0x1
	.p2align	6
.LBB42_155:                             ;   Parent Loop BB42_11 Depth=1
                                        ;     Parent Loop BB42_154 Depth=2
                                        ; =>    This Inner Loop Header: Depth=3
	v_lshlrev_b64 v[11:12], 4, v[7:8]
	s_add_u32 s70, s58, s29
	s_addc_u32 s71, s59, s66
	s_clause 0x1
	global_load_dwordx2 v[32:33], v5, s[58:59] offset:32
	global_load_dwordx2 v[28:29], v5, s[70:71]
	s_add_i32 s69, s69, -1
	v_add_co_u32 v11, vcc_lo, s25, v11
	v_add_co_ci_u32_e64 v12, null, s51, v12, vcc_lo
	v_add_co_u32 v7, vcc_lo, v7, s63
	v_add_co_ci_u32_e64 v8, null, s68, v8, vcc_lo
	global_load_dwordx4 v[24:27], v[11:12], off offset:-16
	s_add_u32 s58, s58, s56
	s_addc_u32 s59, s59, s57
	s_cmp_eq_u32 s69, 0
	s_waitcnt vmcnt(1)
	v_mul_f64 v[36:37], v[1:2], v[28:29]
	v_mul_f64 v[38:39], v[3:4], v[28:29]
	s_waitcnt vmcnt(0)
	v_mul_f64 v[30:31], v[24:25], v[28:29]
	v_mul_f64 v[34:35], v[26:27], v[28:29]
	v_fma_f64 v[28:29], v[1:2], v[32:33], -v[30:31]
	v_fma_f64 v[30:31], v[3:4], v[32:33], -v[34:35]
	v_fma_f64 v[1:2], v[24:25], v[32:33], v[36:37]
	v_fma_f64 v[3:4], v[26:27], v[32:33], v[38:39]
	global_store_dwordx4 v[9:10], v[28:31], off offset:-8
	v_add_co_u32 v9, vcc_lo, v9, s52
	v_add_co_ci_u32_e64 v10, null, s53, v10, vcc_lo
	s_cbranch_scc0 .LBB42_155
; %bb.156:                              ;   in Loop: Header=BB42_154 Depth=2
	s_inst_prefetch 0x2
	v_add_nc_u32_e32 v23, s9, v23
	v_add_nc_u32_e32 v22, s67, v22
	;; [unrolled: 1-line block ×3, first 2 shown]
	global_store_dwordx4 v[11:12], v[1:4], off offset:-16
	v_cmp_le_i32_e32 vcc_lo, s37, v23
	s_or_b32 s60, vcc_lo, s60
	s_andn2_b32 exec_lo, exec_lo, s60
	s_cbranch_execnz .LBB42_154
.LBB42_157:                             ;   in Loop: Header=BB42_11 Depth=1
	s_or_b32 exec_lo, exec_lo, s24
	s_andn2_b32 vcc_lo, exec_lo, s80
	s_cbranch_vccnz .LBB42_151
.LBB42_158:                             ;   in Loop: Header=BB42_11 Depth=1
	s_and_saveexec_b32 s9, s5
	s_cbranch_execz .LBB42_163
; %bb.159:                              ;   in Loop: Header=BB42_11 Depth=1
	s_load_dword s51, s[26:27], 0xc
	s_mul_i32 s24, s30, s13
	v_mov_b32_e32 v10, v0
	s_ashr_i32 s25, s24, 31
	s_mul_i32 s59, s13, s50
	s_lshl_b64 s[24:25], s[24:25], 4
	s_add_u32 s12, s10, s24
	s_addc_u32 s24, s11, s25
	s_add_i32 s25, s22, -1
	s_cmp_eq_u32 s8, 0
	s_cselect_b32 s58, s22, 0
	s_cselect_b32 s25, s25, 0
	s_ashr_i32 s29, s28, 31
	s_add_i32 s52, s25, s23
	s_lshl_b64 s[54:55], s[28:29], 3
	s_mul_i32 s57, s58, s13
	v_add_nc_u32_e32 v9, s57, v0
	s_waitcnt lgkmcnt(0)
	s_and_b32 s25, s51, 0xffff
	s_sub_u32 s29, s54, s46
	s_subb_u32 s51, s55, s47
	s_add_u32 s29, s29, 40
	s_addc_u32 s56, s51, 0
	s_ashr_i32 s53, s52, 31
	s_lshl_b64 s[54:55], s[48:49], 3
	s_lshl_b64 s[52:53], s[52:53], 3
	s_add_u32 s51, s54, s52
	s_addc_u32 s53, s55, s53
	s_add_u32 s52, s84, s51
	s_addc_u32 s53, s85, s53
	s_lshl_b32 s51, s8, 1
	s_add_i32 s54, s51, -2
	s_add_i32 s51, s58, s51
	s_ashr_i32 s55, s54, 31
	s_add_i32 s51, s51, -1
	s_lshl_b64 s[54:55], s[54:55], 3
	v_mad_u64_u32 v[6:7], null, s13, s51, v[0:1]
	s_mov_b32 s58, 0
	s_or_b32 s54, s54, 8
.LBB42_160:                             ;   Parent Loop BB42_11 Depth=1
                                        ; =>  This Loop Header: Depth=2
                                        ;       Child Loop BB42_161 Depth 3
	v_add_nc_u32_e32 v1, s57, v10
	s_mov_b32 s60, 0
	s_mov_b64 s[50:51], s[52:53]
	s_mov_b32 s61, s22
	v_ashrrev_i32_e32 v2, 31, v1
	v_lshlrev_b64 v[1:2], 4, v[1:2]
	v_add_co_u32 v1, vcc_lo, s12, v1
	v_add_co_ci_u32_e64 v2, null, s24, v2, vcc_lo
	global_load_dwordx4 v[1:4], v[1:2], off
	s_inst_prefetch 0x1
	.p2align	6
.LBB42_161:                             ;   Parent Loop BB42_11 Depth=1
                                        ;     Parent Loop BB42_160 Depth=2
                                        ; =>    This Inner Loop Header: Depth=3
	v_add_nc_u32_e32 v7, s60, v6
	s_add_u32 s62, s50, s29
	s_addc_u32 s63, s51, s56
	global_load_dwordx2 v[11:12], v5, s[50:51] offset:32
	v_add_nc_u32_e32 v36, s60, v9
	v_ashrrev_i32_e32 v8, 31, v7
	s_add_i32 s61, s61, -1
	s_add_u32 s50, s50, s54
	s_addc_u32 s51, s51, s55
	v_ashrrev_i32_e32 v37, 31, v36
	v_lshlrev_b64 v[7:8], 4, v[7:8]
	s_add_i32 s60, s60, s59
	s_cmp_eq_u32 s61, 0
	v_add_co_u32 v7, vcc_lo, s12, v7
	v_add_co_ci_u32_e64 v8, null, s24, v8, vcc_lo
	global_load_dwordx2 v[26:27], v5, s[62:63]
	global_load_dwordx4 v[22:25], v[7:8], off
	s_waitcnt vmcnt(1)
	v_mul_f64 v[30:31], v[1:2], v[26:27]
	s_waitcnt vmcnt(0)
	v_mul_f64 v[28:29], v[22:23], v[26:27]
	v_mul_f64 v[32:33], v[24:25], v[26:27]
	;; [unrolled: 1-line block ×3, first 2 shown]
	v_fma_f64 v[26:27], v[1:2], v[11:12], -v[28:29]
	v_fma_f64 v[28:29], v[3:4], v[11:12], -v[32:33]
	v_fma_f64 v[1:2], v[22:23], v[11:12], v[30:31]
	v_fma_f64 v[3:4], v[24:25], v[11:12], v[34:35]
	v_lshlrev_b64 v[11:12], 4, v[36:37]
	v_add_co_u32 v11, vcc_lo, s12, v11
	v_add_co_ci_u32_e64 v12, null, s24, v12, vcc_lo
	global_store_dwordx4 v[11:12], v[26:29], off
	s_cbranch_scc0 .LBB42_161
; %bb.162:                              ;   in Loop: Header=BB42_160 Depth=2
	s_inst_prefetch 0x2
	v_add_nc_u32_e32 v10, s25, v10
	v_add_nc_u32_e32 v9, s25, v9
	;; [unrolled: 1-line block ×3, first 2 shown]
	global_store_dwordx4 v[7:8], v[1:4], off
	v_cmp_le_i32_e32 vcc_lo, s38, v10
	s_or_b32 s58, vcc_lo, s58
	s_andn2_b32 exec_lo, exec_lo, s58
	s_cbranch_execnz .LBB42_160
.LBB42_163:                             ;   in Loop: Header=BB42_11 Depth=1
	s_or_b32 exec_lo, exec_lo, s9
	s_andn2_b32 vcc_lo, exec_lo, s81
	s_cbranch_vccnz .LBB42_10
.LBB42_164:                             ;   in Loop: Header=BB42_11 Depth=1
	s_and_saveexec_b32 s24, s6
	s_cbranch_execz .LBB42_9
; %bb.165:                              ;   in Loop: Header=BB42_11 Depth=1
	s_load_dword s52, s[26:27], 0xc
	s_lshl_b64 s[30:31], s[30:31], 4
	v_mov_b32_e32 v22, v16
	s_add_u32 s50, s42, s30
	s_addc_u32 s51, s43, s31
	s_add_i32 s9, s22, -1
	s_cmp_eq_u32 s8, 0
	v_mov_b32_e32 v23, v0
	s_cselect_b32 s12, s22, 0
	s_cselect_b32 s53, s9, 0
	s_ashr_i32 s29, s28, 31
	s_ashr_i32 s9, s8, 31
	s_lshl_b64 s[28:29], s[28:29], 3
	s_add_i32 s54, s53, s23
	v_add_nc_u32_e32 v6, s12, v16
	s_mov_b32 s25, 0
	s_waitcnt lgkmcnt(0)
	s_and_b32 s23, s52, 0xffff
	s_sub_u32 s28, s28, s46
	s_subb_u32 s29, s29, s47
	s_add_u32 s52, s28, 40
	s_addc_u32 s53, s29, 0
	s_ashr_i32 s55, s54, 31
	s_lshl_b64 s[28:29], s[48:49], 3
	s_lshl_b64 s[46:47], s[54:55], 3
	s_mul_i32 s48, s41, s23
	s_add_u32 s28, s28, s46
	s_addc_u32 s29, s29, s47
	s_add_u32 s28, s84, s28
	s_addc_u32 s29, s85, s29
	s_lshl_b32 s46, s8, 1
	s_lshl_b64 s[54:55], s[8:9], 1
	s_add_i32 s46, s46, -2
	s_ashr_i32 s56, s12, 31
	s_ashr_i32 s47, s46, 31
	s_lshl_b64 s[8:9], s[46:47], 3
	s_mov_b32 s58, s47
	s_or_b32 s8, s8, 8
	s_add_u32 s49, s54, s12
	s_addc_u32 s54, s55, s56
	s_or_b32 s55, s46, 1
	s_add_u32 s56, s94, s30
	s_addc_u32 s57, s95, s31
	s_lshl_b64 s[30:31], s[46:47], 4
	s_or_b32 s30, s30, 16
.LBB42_166:                             ;   Parent Loop BB42_11 Depth=1
                                        ; =>  This Loop Header: Depth=2
                                        ;       Child Loop BB42_167 Depth 3
	v_mad_u64_u32 v[1:2], null, v23, s41, s[12:13]
	v_ashrrev_i32_e32 v7, 31, v6
	v_ashrrev_i32_e32 v8, 31, v22
	s_mov_b64 s[46:47], s[28:29]
	s_mov_b32 s59, s22
	v_lshlrev_b64 v[9:10], 4, v[6:7]
	v_ashrrev_i32_e32 v2, 31, v1
	v_lshlrev_b64 v[1:2], 4, v[1:2]
	v_add_co_u32 v1, vcc_lo, s50, v1
	v_add_co_ci_u32_e64 v2, null, s51, v2, vcc_lo
	v_add_co_u32 v7, vcc_lo, s49, v22
	v_add_co_ci_u32_e64 v8, null, s54, v8, vcc_lo
	global_load_dwordx4 v[1:4], v[1:2], off
	v_add_co_u32 v9, vcc_lo, s56, v9
	v_add_co_ci_u32_e64 v10, null, s57, v10, vcc_lo
	s_inst_prefetch 0x1
	.p2align	6
.LBB42_167:                             ;   Parent Loop BB42_11 Depth=1
                                        ;     Parent Loop BB42_166 Depth=2
                                        ; =>    This Inner Loop Header: Depth=3
	v_lshlrev_b64 v[11:12], 4, v[7:8]
	s_add_u32 s60, s46, s52
	s_addc_u32 s61, s47, s53
	s_clause 0x1
	global_load_dwordx2 v[32:33], v5, s[46:47] offset:32
	global_load_dwordx2 v[28:29], v5, s[60:61]
	s_add_i32 s59, s59, -1
	v_add_co_u32 v11, vcc_lo, s50, v11
	v_add_co_ci_u32_e64 v12, null, s51, v12, vcc_lo
	v_add_co_u32 v7, vcc_lo, v7, s55
	v_add_co_ci_u32_e64 v8, null, s58, v8, vcc_lo
	global_load_dwordx4 v[24:27], v[11:12], off offset:-16
	s_add_u32 s46, s46, s8
	s_addc_u32 s47, s47, s9
	s_cmp_eq_u32 s59, 0
	s_waitcnt vmcnt(1)
	v_mul_f64 v[36:37], v[1:2], v[28:29]
	v_mul_f64 v[38:39], v[3:4], v[28:29]
	s_waitcnt vmcnt(0)
	v_mul_f64 v[30:31], v[24:25], v[28:29]
	v_mul_f64 v[34:35], v[26:27], v[28:29]
	v_fma_f64 v[28:29], v[1:2], v[32:33], -v[30:31]
	v_fma_f64 v[30:31], v[3:4], v[32:33], -v[34:35]
	v_fma_f64 v[1:2], v[24:25], v[32:33], v[36:37]
	v_fma_f64 v[3:4], v[26:27], v[32:33], v[38:39]
	global_store_dwordx4 v[9:10], v[28:31], off offset:-8
	v_add_co_u32 v9, vcc_lo, v9, s30
	v_add_co_ci_u32_e64 v10, null, s31, v10, vcc_lo
	s_cbranch_scc0 .LBB42_167
; %bb.168:                              ;   in Loop: Header=BB42_166 Depth=2
	s_inst_prefetch 0x2
	v_add_nc_u32_e32 v23, s23, v23
	v_add_nc_u32_e32 v22, s48, v22
	;; [unrolled: 1-line block ×3, first 2 shown]
	global_store_dwordx4 v[11:12], v[1:4], off offset:-16
	v_cmp_le_i32_e32 vcc_lo, s39, v23
	s_or_b32 s25, vcc_lo, s25
	s_andn2_b32 exec_lo, exec_lo, s25
	s_cbranch_execnz .LBB42_166
	s_branch .LBB42_9
.LBB42_169:                             ;   in Loop: Header=BB42_11 Depth=1
	s_ashr_i32 s51, s50, 31
	s_lshl_b64 s[60:61], s[50:51], 3
	s_add_u32 s60, s64, s60
	s_addc_u32 s61, s65, s61
	global_load_dwordx2 v[1:2], v5, s[60:61] offset:-8
	s_waitcnt vmcnt(0)
	v_mul_f64 v[22:23], v[6:7], v[1:2]
	v_mul_f64 v[1:2], v[1:2], -v[8:9]
	global_store_dwordx2 v5, v[22:23], s[60:61] offset:-8
	s_and_b32 s51, s74, s57
	v_cndmask_b32_e64 v22, 0, 1, s51
	s_andn2_b32 vcc_lo, exec_lo, s51
	s_cbranch_vccnz .LBB42_113
.LBB42_170:                             ;   in Loop: Header=BB42_11 Depth=1
	s_add_u32 s60, s24, s62
	s_addc_u32 s61, s25, s63
	s_ashr_i32 s55, s54, 31
	s_lshl_b64 s[62:63], s[54:55], 3
	s_add_u32 s62, s60, s62
	s_addc_u32 s63, s61, s63
	global_store_dwordx2 v5, v[6:7], s[60:61] offset:24
	global_store_dwordx2 v5, v[8:9], s[62:63] offset:24
	s_xor_b32 s51, s97, -1
	s_or_b32 s57, s78, s51
	s_and_b32 vcc_lo, exec_lo, s57
	s_cbranch_vccz .LBB42_114
	s_branch .LBB42_115
.LBB42_171:
	s_endpgm
	.section	.rodata,"a",@progbits
	.p2align	6, 0x0
	.amdhsa_kernel _ZN9rocsolver6v33100L13bdsqr_computeILi256E19rocblas_complex_numIdEdPS3_S4_S4_EEviiiiPT1_lS6_lT2_iilT3_iilT4_iiliS5_S5_S5_S5_PiS6_ilSA_
		.amdhsa_group_segment_fixed_size 2072
		.amdhsa_private_segment_fixed_size 0
		.amdhsa_kernarg_size 456
		.amdhsa_user_sgpr_count 6
		.amdhsa_user_sgpr_private_segment_buffer 1
		.amdhsa_user_sgpr_dispatch_ptr 0
		.amdhsa_user_sgpr_queue_ptr 0
		.amdhsa_user_sgpr_kernarg_segment_ptr 1
		.amdhsa_user_sgpr_dispatch_id 0
		.amdhsa_user_sgpr_flat_scratch_init 0
		.amdhsa_user_sgpr_private_segment_size 0
		.amdhsa_wavefront_size32 1
		.amdhsa_uses_dynamic_stack 0
		.amdhsa_system_sgpr_private_segment_wavefront_offset 0
		.amdhsa_system_sgpr_workgroup_id_x 1
		.amdhsa_system_sgpr_workgroup_id_y 1
		.amdhsa_system_sgpr_workgroup_id_z 1
		.amdhsa_system_sgpr_workgroup_info 0
		.amdhsa_system_vgpr_workitem_id 0
		.amdhsa_next_free_vgpr 41
		.amdhsa_next_free_sgpr 105
		.amdhsa_reserve_vcc 1
		.amdhsa_reserve_flat_scratch 0
		.amdhsa_float_round_mode_32 0
		.amdhsa_float_round_mode_16_64 0
		.amdhsa_float_denorm_mode_32 3
		.amdhsa_float_denorm_mode_16_64 3
		.amdhsa_dx10_clamp 1
		.amdhsa_ieee_mode 1
		.amdhsa_fp16_overflow 0
		.amdhsa_workgroup_processor_mode 1
		.amdhsa_memory_ordered 1
		.amdhsa_forward_progress 1
		.amdhsa_shared_vgpr_count 0
		.amdhsa_exception_fp_ieee_invalid_op 0
		.amdhsa_exception_fp_denorm_src 0
		.amdhsa_exception_fp_ieee_div_zero 0
		.amdhsa_exception_fp_ieee_overflow 0
		.amdhsa_exception_fp_ieee_underflow 0
		.amdhsa_exception_fp_ieee_inexact 0
		.amdhsa_exception_int_div_zero 0
	.end_amdhsa_kernel
	.section	.text._ZN9rocsolver6v33100L13bdsqr_computeILi256E19rocblas_complex_numIdEdPS3_S4_S4_EEviiiiPT1_lS6_lT2_iilT3_iilT4_iiliS5_S5_S5_S5_PiS6_ilSA_,"axG",@progbits,_ZN9rocsolver6v33100L13bdsqr_computeILi256E19rocblas_complex_numIdEdPS3_S4_S4_EEviiiiPT1_lS6_lT2_iilT3_iilT4_iiliS5_S5_S5_S5_PiS6_ilSA_,comdat
.Lfunc_end42:
	.size	_ZN9rocsolver6v33100L13bdsqr_computeILi256E19rocblas_complex_numIdEdPS3_S4_S4_EEviiiiPT1_lS6_lT2_iilT3_iilT4_iiliS5_S5_S5_S5_PiS6_ilSA_, .Lfunc_end42-_ZN9rocsolver6v33100L13bdsqr_computeILi256E19rocblas_complex_numIdEdPS3_S4_S4_EEviiiiPT1_lS6_lT2_iilT3_iilT4_iiliS5_S5_S5_S5_PiS6_ilSA_
                                        ; -- End function
	.set _ZN9rocsolver6v33100L13bdsqr_computeILi256E19rocblas_complex_numIdEdPS3_S4_S4_EEviiiiPT1_lS6_lT2_iilT3_iilT4_iiliS5_S5_S5_S5_PiS6_ilSA_.num_vgpr, 41
	.set _ZN9rocsolver6v33100L13bdsqr_computeILi256E19rocblas_complex_numIdEdPS3_S4_S4_EEviiiiPT1_lS6_lT2_iilT3_iilT4_iiliS5_S5_S5_S5_PiS6_ilSA_.num_agpr, 0
	.set _ZN9rocsolver6v33100L13bdsqr_computeILi256E19rocblas_complex_numIdEdPS3_S4_S4_EEviiiiPT1_lS6_lT2_iilT3_iilT4_iiliS5_S5_S5_S5_PiS6_ilSA_.numbered_sgpr, 105
	.set _ZN9rocsolver6v33100L13bdsqr_computeILi256E19rocblas_complex_numIdEdPS3_S4_S4_EEviiiiPT1_lS6_lT2_iilT3_iilT4_iiliS5_S5_S5_S5_PiS6_ilSA_.num_named_barrier, 0
	.set _ZN9rocsolver6v33100L13bdsqr_computeILi256E19rocblas_complex_numIdEdPS3_S4_S4_EEviiiiPT1_lS6_lT2_iilT3_iilT4_iiliS5_S5_S5_S5_PiS6_ilSA_.private_seg_size, 0
	.set _ZN9rocsolver6v33100L13bdsqr_computeILi256E19rocblas_complex_numIdEdPS3_S4_S4_EEviiiiPT1_lS6_lT2_iilT3_iilT4_iiliS5_S5_S5_S5_PiS6_ilSA_.uses_vcc, 1
	.set _ZN9rocsolver6v33100L13bdsqr_computeILi256E19rocblas_complex_numIdEdPS3_S4_S4_EEviiiiPT1_lS6_lT2_iilT3_iilT4_iiliS5_S5_S5_S5_PiS6_ilSA_.uses_flat_scratch, 0
	.set _ZN9rocsolver6v33100L13bdsqr_computeILi256E19rocblas_complex_numIdEdPS3_S4_S4_EEviiiiPT1_lS6_lT2_iilT3_iilT4_iiliS5_S5_S5_S5_PiS6_ilSA_.has_dyn_sized_stack, 0
	.set _ZN9rocsolver6v33100L13bdsqr_computeILi256E19rocblas_complex_numIdEdPS3_S4_S4_EEviiiiPT1_lS6_lT2_iilT3_iilT4_iiliS5_S5_S5_S5_PiS6_ilSA_.has_recursion, 0
	.set _ZN9rocsolver6v33100L13bdsqr_computeILi256E19rocblas_complex_numIdEdPS3_S4_S4_EEviiiiPT1_lS6_lT2_iilT3_iilT4_iiliS5_S5_S5_S5_PiS6_ilSA_.has_indirect_call, 0
	.section	.AMDGPU.csdata,"",@progbits
; Kernel info:
; codeLenInByte = 9652
; TotalNumSgprs: 107
; NumVgprs: 41
; ScratchSize: 0
; MemoryBound: 0
; FloatMode: 240
; IeeeMode: 1
; LDSByteSize: 2072 bytes/workgroup (compile time only)
; SGPRBlocks: 0
; VGPRBlocks: 5
; NumSGPRsForWavesPerEU: 107
; NumVGPRsForWavesPerEU: 41
; Occupancy: 16
; WaveLimiterHint : 1
; COMPUTE_PGM_RSRC2:SCRATCH_EN: 0
; COMPUTE_PGM_RSRC2:USER_SGPR: 6
; COMPUTE_PGM_RSRC2:TRAP_HANDLER: 0
; COMPUTE_PGM_RSRC2:TGID_X_EN: 1
; COMPUTE_PGM_RSRC2:TGID_Y_EN: 1
; COMPUTE_PGM_RSRC2:TGID_Z_EN: 1
; COMPUTE_PGM_RSRC2:TIDIG_COMP_CNT: 0
	.section	.text._ZN9rocsolver6v33100L12bdsqr_rotateI19rocblas_complex_numIdEdPS3_S4_S4_EEviiiiT1_iilT2_iilT3_iiliPiPT0_ilS8_,"axG",@progbits,_ZN9rocsolver6v33100L12bdsqr_rotateI19rocblas_complex_numIdEdPS3_S4_S4_EEviiiiT1_iilT2_iilT3_iiliPiPT0_ilS8_,comdat
	.globl	_ZN9rocsolver6v33100L12bdsqr_rotateI19rocblas_complex_numIdEdPS3_S4_S4_EEviiiiT1_iilT2_iilT3_iiliPiPT0_ilS8_ ; -- Begin function _ZN9rocsolver6v33100L12bdsqr_rotateI19rocblas_complex_numIdEdPS3_S4_S4_EEviiiiT1_iilT2_iilT3_iiliPiPT0_ilS8_
	.p2align	8
	.type	_ZN9rocsolver6v33100L12bdsqr_rotateI19rocblas_complex_numIdEdPS3_S4_S4_EEviiiiT1_iilT2_iilT3_iiliPiPT0_ilS8_,@function
_ZN9rocsolver6v33100L12bdsqr_rotateI19rocblas_complex_numIdEdPS3_S4_S4_EEviiiiT1_iilT2_iilT3_iiliPiPT0_ilS8_: ; @_ZN9rocsolver6v33100L12bdsqr_rotateI19rocblas_complex_numIdEdPS3_S4_S4_EEviiiiT1_iilT2_iilT3_iiliPiPT0_ilS8_
; %bb.0:
	s_load_dwordx4 s[0:3], s[4:5], 0x78
	s_ashr_i32 s9, s8, 31
	s_lshl_b64 s[10:11], s[8:9], 2
	s_waitcnt lgkmcnt(0)
	s_add_u32 s2, s2, s10
	s_addc_u32 s3, s3, s11
	s_load_dword s2, s[2:3], 0x8
	s_waitcnt lgkmcnt(0)
	s_cmp_lg_u32 s2, 0
	s_cbranch_scc1 .LBB43_25
; %bb.1:
	s_load_dwordx8 s[12:19], s[4:5], 0x10
	s_add_u32 s24, s4, 0x88
	s_addc_u32 s25, s5, 0
	s_mov_b64 s[2:3], 0
	s_mov_b64 s[10:11], 0
	s_waitcnt lgkmcnt(0)
	s_cmp_eq_u64 s[12:13], 0
	s_cbranch_scc1 .LBB43_3
; %bb.2:
	s_mul_i32 s10, s16, s9
	s_mul_hi_u32 s11, s16, s8
	s_mul_i32 s17, s17, s8
	s_add_i32 s10, s11, s10
	s_add_i32 s11, s10, s17
	s_mul_i32 s10, s16, s8
	s_ashr_i32 s17, s14, 31
	s_lshl_b64 s[10:11], s[10:11], 4
	s_mov_b32 s16, s14
	s_add_u32 s12, s12, s10
	s_addc_u32 s13, s13, s11
	s_lshl_b64 s[10:11], s[16:17], 4
	s_add_u32 s10, s12, s10
	s_addc_u32 s11, s13, s11
.LBB43_3:
	s_clause 0x1
	s_load_dwordx2 s[12:13], s[4:5], 0x30
	s_load_dwordx4 s[20:23], s[4:5], 0x38
	s_cmp_eq_u64 s[18:19], 0
	s_cbranch_scc1 .LBB43_5
; %bb.4:
	s_waitcnt lgkmcnt(0)
	s_mul_i32 s2, s20, s9
	s_mul_hi_u32 s3, s20, s8
	s_mul_i32 s14, s21, s8
	s_add_i32 s2, s3, s2
	s_ashr_i32 s17, s12, 31
	s_add_i32 s3, s2, s14
	s_mul_i32 s2, s20, s8
	s_mov_b32 s16, s12
	s_lshl_b64 s[2:3], s[2:3], 4
	s_add_u32 s12, s18, s2
	s_addc_u32 s14, s19, s3
	s_lshl_b64 s[2:3], s[16:17], 4
	s_add_u32 s2, s12, s2
	s_addc_u32 s3, s14, s3
.LBB43_5:
	s_load_dwordx2 s[26:27], s[4:5], 0x48
	s_waitcnt lgkmcnt(0)
	s_cmp_eq_u64 s[22:23], 0
	s_mov_b64 s[20:21], 0
	s_cbranch_scc1 .LBB43_7
; %bb.6:
	s_load_dwordx2 s[16:17], s[4:5], 0x50
	s_ashr_i32 s19, s26, 31
	s_mov_b32 s18, s26
	s_waitcnt lgkmcnt(0)
	s_mul_i32 s12, s16, s9
	s_mul_hi_u32 s14, s16, s8
	s_mul_i32 s17, s17, s8
	s_add_i32 s12, s14, s12
	s_mul_i32 s16, s16, s8
	s_add_i32 s17, s12, s17
	s_lshl_b64 s[16:17], s[16:17], 4
	s_add_u32 s12, s22, s16
	s_addc_u32 s14, s23, s17
	s_lshl_b64 s[16:17], s[18:19], 4
	s_add_u32 s20, s12, s16
	s_addc_u32 s21, s14, s17
.LBB43_7:
	s_load_dwordx4 s[16:19], s[4:5], 0x60
	s_mul_i32 s9, s0, s9
	s_mul_hi_u32 s12, s0, s8
	s_mul_i32 s1, s1, s8
	s_add_i32 s9, s12, s9
	s_mul_i32 s0, s0, s8
	s_add_i32 s1, s9, s1
	s_lshl_b64 s[22:23], s[0:1], 3
	s_waitcnt lgkmcnt(0)
	s_add_u32 s0, s18, s22
	s_addc_u32 s1, s19, s23
	s_load_dwordx2 s[0:1], s[0:1], 0x10
	s_waitcnt lgkmcnt(0)
	v_cvt_i32_f64_e32 v9, s[0:1]
	v_cmp_ge_i32_e32 vcc_lo, s7, v9
	s_cbranch_vccnz .LBB43_25
; %bb.8:
	s_clause 0x3
	s_load_dwordx4 s[36:39], s[4:5], 0x0
	s_load_dword s9, s[4:5], 0x94
	s_load_dword s12, s[4:5], 0x58
	;; [unrolled: 1-line block ×3, first 2 shown]
	v_mov_b32_e32 v12, 0
	s_waitcnt lgkmcnt(0)
	s_mul_i32 s0, s8, s36
	s_lshl_b32 s0, s0, 1
	s_ashr_i32 s1, s0, 31
	s_lshl_b64 s[0:1], s[0:1], 2
	s_add_u32 s28, s16, s0
	s_addc_u32 s29, s17, s1
	s_and_b32 s0, 0xffff, s9
	s_cmp_eq_u32 s37, 0
	v_mad_u64_u32 v[4:5], null, s6, s0, v[0:1]
	s_load_dword s6, s[24:25], 0x4
	s_cselect_b32 s30, -1, 0
	s_cmp_lg_u64 s[10:11], 0
	s_cselect_b32 s1, -1, 0
	v_cmp_gt_i32_e32 vcc_lo, s37, v4
	v_cmp_gt_i32_e64 s0, s38, v4
	v_mul_lo_u32 v10, v4, s15
	v_mul_lo_u32 v11, v4, s27
	s_and_b32 s31, vcc_lo, s1
	s_cmp_lg_u64 s[2:3], 0
	v_cmp_gt_i32_e32 vcc_lo, s39, v4
	s_cselect_b32 s1, -1, 0
	s_and_b32 s33, s0, s1
	s_cmp_lg_u64 s[20:21], 0
	s_cselect_b32 s0, -1, 0
	s_and_b32 s27, vcc_lo, s0
	s_add_u32 s34, s18, s22
	s_addc_u32 s35, s19, s23
	s_branch .LBB43_12
.LBB43_9:                               ;   in Loop: Header=BB43_12 Depth=1
	s_inst_prefetch 0x2
	v_sub_co_u32 v5, vcc_lo, v7, s4
	v_subrev_co_ci_u32_e64 v6, null, s5, v8, vcc_lo
	v_add_co_u32 v5, vcc_lo, s14, v5
	v_add_co_ci_u32_e64 v6, null, s15, v6, vcc_lo
	global_store_dwordx4 v[5:6], v[0:3], off
.LBB43_10:                              ;   in Loop: Header=BB43_12 Depth=1
	s_or_b32 exec_lo, exec_lo, s18
.LBB43_11:                              ;   in Loop: Header=BB43_12 Depth=1
	s_add_i32 s7, s6, s7
	v_cmp_lt_i32_e32 vcc_lo, s7, v9
	s_cbranch_vccz .LBB43_25
.LBB43_12:                              ; =>This Loop Header: Depth=1
                                        ;     Child Loop BB43_16 Depth 2
                                        ;     Child Loop BB43_20 Depth 2
                                        ;     Child Loop BB43_24 Depth 2
	s_lshl_b32 s0, s7, 2
	s_ashr_i32 s1, s0, 31
	s_lshl_b64 s[0:1], s[0:1], 2
	s_add_u32 s0, s28, s0
	s_addc_u32 s1, s29, s1
	s_clause 0x1
	s_load_dwordx2 s[4:5], s[0:1], 0x0
	s_load_dword s14, s[0:1], 0x8
	s_waitcnt lgkmcnt(0)
	s_cmp_le_i32 s14, s5
	s_cbranch_scc1 .LBB43_11
; %bb.13:                               ;   in Loop: Header=BB43_12 Depth=1
	s_load_dword s0, s[0:1], 0xc
	s_waitcnt lgkmcnt(0)
	s_cmp_lt_i32 s0, s12
	s_cselect_b32 s0, -1, 0
	s_cmp_lg_u32 s4, 0
	s_cselect_b32 s1, -1, 0
	s_and_b32 s0, s0, s1
	s_andn2_b32 vcc_lo, exec_lo, s0
	s_cbranch_vccnz .LBB43_11
; %bb.14:                               ;   in Loop: Header=BB43_12 Depth=1
	s_mul_i32 s8, s5, s26
	s_ashr_i32 s9, s8, 31
	s_cmp_gt_i32 s4, 0
	s_cselect_b32 s36, -1, 0
	s_sub_i32 s0, s14, s5
	s_and_saveexec_b32 s1, s31
	s_cbranch_execz .LBB43_18
; %bb.15:                               ;   in Loop: Header=BB43_12 Depth=1
	s_and_b32 s15, s36, exec_lo
	s_cselect_b32 s15, s5, s14
	s_mov_b32 s22, s4
	v_add_nc_u32_e32 v7, s15, v10
	s_add_i32 s15, s0, -1
	s_and_b32 s16, s36, exec_lo
	s_cselect_b32 s16, 0, s15
	s_ashr_i32 s23, s4, 31
	v_ashrrev_i32_e32 v8, 31, v7
	s_ashr_i32 s17, s16, 31
	s_lshl_b64 s[24:25], s[8:9], 3
	s_lshl_b64 s[18:19], s[16:17], 3
	;; [unrolled: 1-line block ×3, first 2 shown]
	v_lshlrev_b64 v[5:6], 4, v[7:8]
	v_add_nc_u32_e32 v7, s4, v7
	s_add_u32 s15, s18, s24
	s_addc_u32 s19, s19, s25
	s_add_u32 s18, s34, s15
	s_addc_u32 s19, s35, s19
	v_add_co_u32 v0, vcc_lo, s10, v5
	v_add_co_ci_u32_e64 v1, null, s11, v6, vcc_lo
	v_ashrrev_i32_e32 v8, 31, v7
	s_ashr_i32 s15, s14, 31
	s_ashr_i32 s25, s5, 31
	global_load_dwordx4 v[0:3], v[0:1], off
	s_mov_b32 s24, s5
	s_lshl_b64 s[38:39], s[14:15], 3
	s_lshl_b64 s[24:25], s[24:25], 3
	v_lshlrev_b64 v[7:8], 4, v[7:8]
	s_lshl_b64 s[22:23], s[22:23], 3
	v_or_b32_e32 v5, 8, v5
	s_sub_u32 s15, s38, s24
	s_subb_u32 s24, s39, s25
	s_add_u32 s15, s15, 40
	s_addc_u32 s37, s24, 0
	s_mov_b32 s38, s0
	s_mov_b64 s[24:25], s[10:11]
	s_inst_prefetch 0x1
	.p2align	6
.LBB43_16:                              ;   Parent Loop BB43_12 Depth=1
                                        ; =>  This Inner Loop Header: Depth=2
	v_add_co_u32 v13, vcc_lo, s24, v7
	v_add_co_ci_u32_e64 v14, null, s25, v8, vcc_lo
	s_add_u32 s40, s18, s15
	s_addc_u32 s41, s19, s37
	s_clause 0x1
	global_load_dwordx2 v[21:22], v12, s[18:19] offset:32
	global_load_dwordx2 v[17:18], v12, s[40:41]
	global_load_dwordx4 v[13:16], v[13:14], off
	s_waitcnt vmcnt(1)
	v_mul_f64 v[23:24], v[0:1], v[17:18]
	s_waitcnt vmcnt(0)
	v_mul_f64 v[19:20], v[13:14], v[17:18]
	v_mul_f64 v[25:26], v[15:16], v[17:18]
	v_mul_f64 v[27:28], v[2:3], v[17:18]
	v_fma_f64 v[17:18], v[0:1], v[21:22], -v[19:20]
	v_fma_f64 v[19:20], v[2:3], v[21:22], -v[25:26]
	v_fma_f64 v[0:1], v[13:14], v[21:22], v[23:24]
	v_fma_f64 v[2:3], v[15:16], v[21:22], v[27:28]
	v_add_co_u32 v13, vcc_lo, s24, v5
	s_add_u32 s24, s24, s16
	v_add_co_ci_u32_e64 v14, null, s25, v6, vcc_lo
	s_addc_u32 s25, s25, s17
	s_add_i32 s38, s38, -1
	s_add_u32 s18, s18, s22
	s_addc_u32 s19, s19, s23
	s_cmp_eq_u32 s38, 0
	global_store_dwordx4 v[13:14], v[17:20], off offset:-8
	s_cbranch_scc0 .LBB43_16
; %bb.17:                               ;   in Loop: Header=BB43_12 Depth=1
	s_inst_prefetch 0x2
	v_sub_co_u32 v5, vcc_lo, v7, s16
	v_subrev_co_ci_u32_e64 v6, null, s17, v8, vcc_lo
	v_add_co_u32 v5, vcc_lo, s24, v5
	v_add_co_ci_u32_e64 v6, null, s25, v6, vcc_lo
	global_store_dwordx4 v[5:6], v[0:3], off
.LBB43_18:                              ;   in Loop: Header=BB43_12 Depth=1
	s_or_b32 exec_lo, exec_lo, s1
	s_lshl_b32 s1, s0, 1
	s_add_i32 s1, s1, 2
	s_and_b32 s15, s30, exec_lo
	s_cselect_b32 s15, 0, s1
	s_and_saveexec_b32 s22, s33
	s_cbranch_execz .LBB43_22
; %bb.19:                               ;   in Loop: Header=BB43_12 Depth=1
	s_and_b32 s1, s36, exec_lo
	s_cselect_b32 s17, s5, s14
	s_add_i32 s1, s0, -1
	s_mul_i32 s23, s17, s13
	s_and_b32 s16, s36, exec_lo
	v_add_nc_u32_e32 v0, s23, v4
	s_cselect_b32 s16, 0, s1
	s_ashr_i32 s1, s0, 31
	s_add_i32 s16, s15, s16
	s_lshl_b64 s[18:19], s[0:1], 3
	v_ashrrev_i32_e32 v1, 31, v0
	s_add_i32 s25, s17, s4
	s_add_u32 s1, s18, 40
	s_addc_u32 s24, s19, 0
	s_ashr_i32 s17, s16, 31
	v_lshlrev_b64 v[0:1], 4, v[0:1]
	s_lshl_b64 s[18:19], s[8:9], 3
	s_lshl_b64 s[16:17], s[16:17], 3
	v_mov_b32_e32 v7, v4
	s_add_u32 s16, s18, s16
	s_addc_u32 s17, s19, s17
	v_add_co_u32 v0, vcc_lo, s2, v0
	v_add_co_ci_u32_e64 v1, null, s3, v1, vcc_lo
	s_add_u32 s16, s34, s16
	s_addc_u32 s17, s35, s17
	s_ashr_i32 s19, s4, 31
	global_load_dwordx4 v[0:3], v[0:1], off
	s_mov_b32 s18, s4
	s_mul_i32 s25, s13, s25
	s_mul_i32 s37, s13, s4
	s_lshl_b64 s[18:19], s[18:19], 3
	s_mov_b32 s38, s0
	s_inst_prefetch 0x1
	.p2align	6
.LBB43_20:                              ;   Parent Loop BB43_12 Depth=1
                                        ; =>  This Inner Loop Header: Depth=2
	v_add_nc_u32_e32 v5, s25, v7
	s_add_u32 s40, s16, s1
	s_addc_u32 s41, s17, s24
	global_load_dwordx2 v[21:22], v12, s[16:17] offset:32
	v_add_nc_u32_e32 v29, s23, v7
	v_ashrrev_i32_e32 v6, 31, v5
	v_add_nc_u32_e32 v7, s37, v7
	s_add_u32 s16, s16, s18
	s_addc_u32 s17, s17, s19
	v_ashrrev_i32_e32 v30, 31, v29
	v_lshlrev_b64 v[5:6], 4, v[5:6]
	s_add_i32 s38, s38, -1
	s_cmp_eq_u32 s38, 0
	v_add_co_u32 v5, vcc_lo, s2, v5
	v_add_co_ci_u32_e64 v6, null, s3, v6, vcc_lo
	global_load_dwordx2 v[17:18], v12, s[40:41]
	global_load_dwordx4 v[13:16], v[5:6], off
	s_waitcnt vmcnt(1)
	v_mul_f64 v[23:24], v[0:1], v[17:18]
	s_waitcnt vmcnt(0)
	v_mul_f64 v[19:20], v[13:14], v[17:18]
	v_mul_f64 v[25:26], v[15:16], v[17:18]
	;; [unrolled: 1-line block ×3, first 2 shown]
	v_fma_f64 v[17:18], v[0:1], v[21:22], -v[19:20]
	v_fma_f64 v[19:20], v[2:3], v[21:22], -v[25:26]
	v_fma_f64 v[0:1], v[13:14], v[21:22], v[23:24]
	v_fma_f64 v[2:3], v[15:16], v[21:22], v[27:28]
	v_lshlrev_b64 v[13:14], 4, v[29:30]
	v_add_co_u32 v13, vcc_lo, s2, v13
	v_add_co_ci_u32_e64 v14, null, s3, v14, vcc_lo
	global_store_dwordx4 v[13:14], v[17:20], off
	s_cbranch_scc0 .LBB43_20
; %bb.21:                               ;   in Loop: Header=BB43_12 Depth=1
	s_inst_prefetch 0x2
	global_store_dwordx4 v[5:6], v[0:3], off
.LBB43_22:                              ;   in Loop: Header=BB43_12 Depth=1
	s_or_b32 exec_lo, exec_lo, s22
	s_and_saveexec_b32 s18, s27
	s_cbranch_execz .LBB43_10
; %bb.23:                               ;   in Loop: Header=BB43_12 Depth=1
	s_and_b32 s1, s36, exec_lo
	s_cselect_b32 s1, s5, s14
	v_add_nc_u32_e32 v7, s1, v11
	s_add_i32 s1, s0, -1
	s_and_b32 s5, s36, exec_lo
	s_cselect_b32 s5, 0, s1
	s_ashr_i32 s1, s0, 31
	v_ashrrev_i32_e32 v8, 31, v7
	s_lshl_b64 s[16:17], s[0:1], 3
	s_add_i32 s14, s15, s5
	s_add_u32 s1, s16, 40
	s_addc_u32 s19, s17, 0
	v_lshlrev_b64 v[5:6], 4, v[7:8]
	v_add_nc_u32_e32 v7, s4, v7
	s_ashr_i32 s15, s14, 31
	s_lshl_b64 s[8:9], s[8:9], 3
	s_lshl_b64 s[14:15], s[14:15], 3
	v_ashrrev_i32_e32 v8, 31, v7
	v_add_co_u32 v0, vcc_lo, s20, v5
	v_add_co_ci_u32_e64 v1, null, s21, v6, vcc_lo
	s_add_u32 s5, s8, s14
	s_addc_u32 s9, s9, s15
	v_lshlrev_b64 v[7:8], 4, v[7:8]
	global_load_dwordx4 v[0:3], v[0:1], off
	s_add_u32 s8, s34, s5
	v_or_b32_e32 v5, 8, v5
	s_addc_u32 s9, s35, s9
	s_ashr_i32 s5, s4, 31
	s_mov_b64 s[14:15], s[20:21]
	s_lshl_b64 s[16:17], s[4:5], 3
	s_lshl_b64 s[4:5], s[4:5], 4
	s_inst_prefetch 0x1
	.p2align	6
.LBB43_24:                              ;   Parent Loop BB43_12 Depth=1
                                        ; =>  This Inner Loop Header: Depth=2
	v_add_co_u32 v13, vcc_lo, s14, v7
	v_add_co_ci_u32_e64 v14, null, s15, v8, vcc_lo
	s_add_u32 s22, s8, s1
	s_addc_u32 s23, s9, s19
	s_clause 0x1
	global_load_dwordx2 v[21:22], v12, s[8:9] offset:32
	global_load_dwordx2 v[17:18], v12, s[22:23]
	global_load_dwordx4 v[13:16], v[13:14], off
	s_add_i32 s0, s0, -1
	s_add_u32 s8, s8, s16
	s_addc_u32 s9, s9, s17
	s_waitcnt vmcnt(1)
	v_mul_f64 v[23:24], v[0:1], v[17:18]
	s_waitcnt vmcnt(0)
	v_mul_f64 v[19:20], v[13:14], v[17:18]
	v_mul_f64 v[25:26], v[15:16], v[17:18]
	;; [unrolled: 1-line block ×3, first 2 shown]
	v_fma_f64 v[17:18], v[0:1], v[21:22], -v[19:20]
	v_fma_f64 v[19:20], v[2:3], v[21:22], -v[25:26]
	v_fma_f64 v[0:1], v[13:14], v[21:22], v[23:24]
	v_fma_f64 v[2:3], v[15:16], v[21:22], v[27:28]
	v_add_co_u32 v13, vcc_lo, s14, v5
	v_add_co_ci_u32_e64 v14, null, s15, v6, vcc_lo
	s_add_u32 s14, s14, s4
	s_addc_u32 s15, s15, s5
	s_cmp_eq_u32 s0, 0
	global_store_dwordx4 v[13:14], v[17:20], off offset:-8
	s_cbranch_scc0 .LBB43_24
	s_branch .LBB43_9
.LBB43_25:
	s_endpgm
	.section	.rodata,"a",@progbits
	.p2align	6, 0x0
	.amdhsa_kernel _ZN9rocsolver6v33100L12bdsqr_rotateI19rocblas_complex_numIdEdPS3_S4_S4_EEviiiiT1_iilT2_iilT3_iiliPiPT0_ilS8_
		.amdhsa_group_segment_fixed_size 0
		.amdhsa_private_segment_fixed_size 0
		.amdhsa_kernarg_size 392
		.amdhsa_user_sgpr_count 6
		.amdhsa_user_sgpr_private_segment_buffer 1
		.amdhsa_user_sgpr_dispatch_ptr 0
		.amdhsa_user_sgpr_queue_ptr 0
		.amdhsa_user_sgpr_kernarg_segment_ptr 1
		.amdhsa_user_sgpr_dispatch_id 0
		.amdhsa_user_sgpr_flat_scratch_init 0
		.amdhsa_user_sgpr_private_segment_size 0
		.amdhsa_wavefront_size32 1
		.amdhsa_uses_dynamic_stack 0
		.amdhsa_system_sgpr_private_segment_wavefront_offset 0
		.amdhsa_system_sgpr_workgroup_id_x 1
		.amdhsa_system_sgpr_workgroup_id_y 1
		.amdhsa_system_sgpr_workgroup_id_z 1
		.amdhsa_system_sgpr_workgroup_info 0
		.amdhsa_system_vgpr_workitem_id 0
		.amdhsa_next_free_vgpr 31
		.amdhsa_next_free_sgpr 42
		.amdhsa_reserve_vcc 1
		.amdhsa_reserve_flat_scratch 0
		.amdhsa_float_round_mode_32 0
		.amdhsa_float_round_mode_16_64 0
		.amdhsa_float_denorm_mode_32 3
		.amdhsa_float_denorm_mode_16_64 3
		.amdhsa_dx10_clamp 1
		.amdhsa_ieee_mode 1
		.amdhsa_fp16_overflow 0
		.amdhsa_workgroup_processor_mode 1
		.amdhsa_memory_ordered 1
		.amdhsa_forward_progress 1
		.amdhsa_shared_vgpr_count 0
		.amdhsa_exception_fp_ieee_invalid_op 0
		.amdhsa_exception_fp_denorm_src 0
		.amdhsa_exception_fp_ieee_div_zero 0
		.amdhsa_exception_fp_ieee_overflow 0
		.amdhsa_exception_fp_ieee_underflow 0
		.amdhsa_exception_fp_ieee_inexact 0
		.amdhsa_exception_int_div_zero 0
	.end_amdhsa_kernel
	.section	.text._ZN9rocsolver6v33100L12bdsqr_rotateI19rocblas_complex_numIdEdPS3_S4_S4_EEviiiiT1_iilT2_iilT3_iiliPiPT0_ilS8_,"axG",@progbits,_ZN9rocsolver6v33100L12bdsqr_rotateI19rocblas_complex_numIdEdPS3_S4_S4_EEviiiiT1_iilT2_iilT3_iiliPiPT0_ilS8_,comdat
.Lfunc_end43:
	.size	_ZN9rocsolver6v33100L12bdsqr_rotateI19rocblas_complex_numIdEdPS3_S4_S4_EEviiiiT1_iilT2_iilT3_iiliPiPT0_ilS8_, .Lfunc_end43-_ZN9rocsolver6v33100L12bdsqr_rotateI19rocblas_complex_numIdEdPS3_S4_S4_EEviiiiT1_iilT2_iilT3_iiliPiPT0_ilS8_
                                        ; -- End function
	.set _ZN9rocsolver6v33100L12bdsqr_rotateI19rocblas_complex_numIdEdPS3_S4_S4_EEviiiiT1_iilT2_iilT3_iiliPiPT0_ilS8_.num_vgpr, 31
	.set _ZN9rocsolver6v33100L12bdsqr_rotateI19rocblas_complex_numIdEdPS3_S4_S4_EEviiiiT1_iilT2_iilT3_iiliPiPT0_ilS8_.num_agpr, 0
	.set _ZN9rocsolver6v33100L12bdsqr_rotateI19rocblas_complex_numIdEdPS3_S4_S4_EEviiiiT1_iilT2_iilT3_iiliPiPT0_ilS8_.numbered_sgpr, 42
	.set _ZN9rocsolver6v33100L12bdsqr_rotateI19rocblas_complex_numIdEdPS3_S4_S4_EEviiiiT1_iilT2_iilT3_iiliPiPT0_ilS8_.num_named_barrier, 0
	.set _ZN9rocsolver6v33100L12bdsqr_rotateI19rocblas_complex_numIdEdPS3_S4_S4_EEviiiiT1_iilT2_iilT3_iiliPiPT0_ilS8_.private_seg_size, 0
	.set _ZN9rocsolver6v33100L12bdsqr_rotateI19rocblas_complex_numIdEdPS3_S4_S4_EEviiiiT1_iilT2_iilT3_iiliPiPT0_ilS8_.uses_vcc, 1
	.set _ZN9rocsolver6v33100L12bdsqr_rotateI19rocblas_complex_numIdEdPS3_S4_S4_EEviiiiT1_iilT2_iilT3_iiliPiPT0_ilS8_.uses_flat_scratch, 0
	.set _ZN9rocsolver6v33100L12bdsqr_rotateI19rocblas_complex_numIdEdPS3_S4_S4_EEviiiiT1_iilT2_iilT3_iiliPiPT0_ilS8_.has_dyn_sized_stack, 0
	.set _ZN9rocsolver6v33100L12bdsqr_rotateI19rocblas_complex_numIdEdPS3_S4_S4_EEviiiiT1_iilT2_iilT3_iiliPiPT0_ilS8_.has_recursion, 0
	.set _ZN9rocsolver6v33100L12bdsqr_rotateI19rocblas_complex_numIdEdPS3_S4_S4_EEviiiiT1_iilT2_iilT3_iiliPiPT0_ilS8_.has_indirect_call, 0
	.section	.AMDGPU.csdata,"",@progbits
; Kernel info:
; codeLenInByte = 1976
; TotalNumSgprs: 44
; NumVgprs: 31
; ScratchSize: 0
; MemoryBound: 0
; FloatMode: 240
; IeeeMode: 1
; LDSByteSize: 0 bytes/workgroup (compile time only)
; SGPRBlocks: 0
; VGPRBlocks: 3
; NumSGPRsForWavesPerEU: 44
; NumVGPRsForWavesPerEU: 31
; Occupancy: 16
; WaveLimiterHint : 1
; COMPUTE_PGM_RSRC2:SCRATCH_EN: 0
; COMPUTE_PGM_RSRC2:USER_SGPR: 6
; COMPUTE_PGM_RSRC2:TRAP_HANDLER: 0
; COMPUTE_PGM_RSRC2:TGID_X_EN: 1
; COMPUTE_PGM_RSRC2:TGID_Y_EN: 1
; COMPUTE_PGM_RSRC2:TGID_Z_EN: 1
; COMPUTE_PGM_RSRC2:TIDIG_COMP_CNT: 0
	.section	.text._ZN9rocsolver6v33100L22bdsqr_update_endpointsI19rocblas_complex_numIdEdEEviPT0_lPiS5_lS6_,"axG",@progbits,_ZN9rocsolver6v33100L22bdsqr_update_endpointsI19rocblas_complex_numIdEdEEviPT0_lPiS5_lS6_,comdat
	.globl	_ZN9rocsolver6v33100L22bdsqr_update_endpointsI19rocblas_complex_numIdEdEEviPT0_lPiS5_lS6_ ; -- Begin function _ZN9rocsolver6v33100L22bdsqr_update_endpointsI19rocblas_complex_numIdEdEEviPT0_lPiS5_lS6_
	.p2align	8
	.type	_ZN9rocsolver6v33100L22bdsqr_update_endpointsI19rocblas_complex_numIdEdEEviPT0_lPiS5_lS6_,@function
_ZN9rocsolver6v33100L22bdsqr_update_endpointsI19rocblas_complex_numIdEdEEviPT0_lPiS5_lS6_: ; @_ZN9rocsolver6v33100L22bdsqr_update_endpointsI19rocblas_complex_numIdEdEEviPT0_lPiS5_lS6_
; %bb.0:
	s_load_dwordx4 s[0:3], s[4:5], 0x28
	s_ashr_i32 s9, s8, 31
	s_lshl_b64 s[10:11], s[8:9], 2
	s_waitcnt lgkmcnt(0)
	s_add_u32 s2, s2, s10
	s_addc_u32 s3, s3, s11
	s_load_dword s2, s[2:3], 0x8
	s_waitcnt lgkmcnt(0)
	s_cmp_lg_u32 s2, 0
	s_cbranch_scc1 .LBB44_31
; %bb.1:
	s_load_dwordx8 s[12:19], s[4:5], 0x8
	s_mul_i32 s2, s0, s9
	s_mul_hi_u32 s3, s0, s8
	s_mul_i32 s1, s1, s8
	s_add_i32 s2, s3, s2
	s_mul_i32 s0, s0, s8
	s_add_i32 s1, s2, s1
	s_lshl_b64 s[0:1], s[0:1], 3
	s_waitcnt lgkmcnt(0)
	s_add_u32 s2, s18, s0
	s_addc_u32 s3, s19, s1
	s_load_dwordx4 s[20:23], s[2:3], 0x8
	s_waitcnt lgkmcnt(0)
	v_cvt_i32_f64_e32 v9, s[22:23]
	v_cmp_ge_i32_e32 vcc_lo, s7, v9
	s_cbranch_vccnz .LBB44_31
; %bb.2:
	s_load_dword s10, s[4:5], 0x0
	s_mul_i32 s1, s14, s9
	s_mul_hi_u32 s6, s14, s8
	v_cvt_f64_i32_e32 v[4:5], v9
	s_add_i32 s1, s6, s1
	s_load_dword s6, s[4:5], 0x3c
	s_mul_i32 s9, s15, s8
	s_mul_i32 s0, s14, s8
	s_add_i32 s1, s1, s9
	v_mov_b32_e32 v6, 0
	s_lshl_b64 s[0:1], s[0:1], 3
	s_add_u32 s18, s12, s0
	s_addc_u32 s19, s13, s1
	s_waitcnt lgkmcnt(0)
	s_mul_i32 s0, s8, s10
	s_lshl_b32 s0, s0, 1
	s_ashr_i32 s1, s0, 31
	s_lshl_b64 s[0:1], s[0:1], 2
	s_add_u32 s16, s16, s0
	s_addc_u32 s17, s17, s1
	s_add_u32 s22, s18, -8
	s_addc_u32 s23, s19, -1
	s_branch .LBB44_5
.LBB44_3:                               ;   in Loop: Header=BB44_5 Depth=1
	s_mov_b32 s8, s10
.LBB44_4:                               ;   in Loop: Header=BB44_5 Depth=1
	s_add_i32 s7, s6, s7
	v_mov_b32_e32 v0, s8
	v_cmp_lt_i32_e32 vcc_lo, s7, v9
	v_mov_b32_e32 v1, s11
	global_store_dwordx2 v6, v[0:1], s[4:5] offset:4
	s_cbranch_vccz .LBB44_31
.LBB44_5:                               ; =>This Loop Header: Depth=1
                                        ;     Child Loop BB44_10 Depth 2
                                        ;     Child Loop BB44_15 Depth 2
	;; [unrolled: 1-line block ×3, first 2 shown]
                                        ;       Child Loop BB44_29 Depth 3
	s_lshl_b32 s0, s7, 2
	s_ashr_i32 s1, s0, 31
	s_lshl_b64 s[0:1], s[0:1], 2
	s_add_u32 s4, s16, s0
	s_addc_u32 s5, s17, s1
	global_load_dwordx4 v[0:3], v6, s[4:5]
	s_waitcnt vmcnt(0)
	v_cmp_eq_u32_e64 s0, 0, v0
	v_readfirstlane_b32 s12, v1
	v_readfirstlane_b32 s10, v2
	s_and_b32 vcc_lo, exec_lo, s0
	s_cbranch_vccnz .LBB44_7
; %bb.6:                                ;   in Loop: Header=BB44_5 Depth=1
	s_sub_i32 s1, s10, s12
	v_add_nc_u32_e32 v3, s1, v3
	global_store_dword v6, v3, s[4:5] offset:12
.LBB44_7:                               ;   in Loop: Header=BB44_5 Depth=1
	s_cmp_le_i32 s10, s12
	s_cbranch_scc1 .LBB44_17
; %bb.8:                                ;   in Loop: Header=BB44_5 Depth=1
	s_ashr_i32 s13, s12, 31
	s_lshl_b64 s[8:9], s[12:13], 3
	s_add_u32 s14, s18, s8
	s_addc_u32 s15, s19, s9
	s_branch .LBB44_10
	.p2align	6
.LBB44_9:                               ;   in Loop: Header=BB44_10 Depth=2
	v_mov_b32_e32 v7, v6
	s_add_i32 s12, s12, 1
	s_mov_b32 s8, s10
	global_store_dwordx2 v6, v[6:7], s[14:15]
	s_add_u32 s14, s14, 8
	s_addc_u32 s15, s15, 0
	s_cmp_ge_i32 s12, s10
	s_cselect_b32 s1, -1, 0
	s_andn2_b32 vcc_lo, exec_lo, s1
	s_cbranch_vccz .LBB44_12
.LBB44_10:                              ;   Parent Loop BB44_5 Depth=1
                                        ; =>  This Inner Loop Header: Depth=2
	global_load_dwordx2 v[0:1], v6, s[14:15]
	s_waitcnt vmcnt(0)
	v_cmp_nlt_f64_e64 s1, |v[0:1]|, s[20:21]
	s_and_b32 vcc_lo, exec_lo, s1
	s_mov_b32 s1, -1
	s_cbranch_vccz .LBB44_9
; %bb.11:                               ;   in Loop: Header=BB44_10 Depth=2
	s_mov_b32 s8, s12
                                        ; implicit-def: $sgpr12
                                        ; implicit-def: $sgpr14_sgpr15
	s_andn2_b32 vcc_lo, exec_lo, s1
	s_cbranch_vccnz .LBB44_10
.LBB44_12:                              ;   in Loop: Header=BB44_5 Depth=1
	s_cmp_le_i32 s10, s8
	s_cbranch_scc1 .LBB44_18
.LBB44_13:                              ;   in Loop: Header=BB44_5 Depth=1
	s_ashr_i32 s11, s10, 31
	s_lshl_b64 s[12:13], s[10:11], 3
	s_add_u32 s12, s22, s12
	s_addc_u32 s13, s23, s13
	s_branch .LBB44_15
	.p2align	6
.LBB44_14:                              ;   in Loop: Header=BB44_15 Depth=2
	v_mov_b32_e32 v7, v6
	s_add_i32 s10, s10, -1
	s_mov_b32 s11, s8
	global_store_dwordx2 v6, v[6:7], s[12:13]
	s_add_u32 s12, s12, -8
	s_addc_u32 s13, s13, -1
	s_cmp_le_i32 s10, s8
	s_cselect_b32 s1, -1, 0
	s_andn2_b32 vcc_lo, exec_lo, s1
	s_cbranch_vccz .LBB44_19
.LBB44_15:                              ;   Parent Loop BB44_5 Depth=1
                                        ; =>  This Inner Loop Header: Depth=2
	global_load_dwordx2 v[0:1], v6, s[12:13]
	s_waitcnt vmcnt(0)
	v_cmp_nlt_f64_e64 s1, |v[0:1]|, s[20:21]
	s_and_b32 vcc_lo, exec_lo, s1
	s_mov_b32 s1, -1
	s_cbranch_vccz .LBB44_14
; %bb.16:                               ;   in Loop: Header=BB44_15 Depth=2
	s_mov_b32 s11, s10
                                        ; implicit-def: $sgpr10
                                        ; implicit-def: $sgpr12_sgpr13
	s_andn2_b32 vcc_lo, exec_lo, s1
	s_cbranch_vccnz .LBB44_15
	s_branch .LBB44_19
.LBB44_17:                              ;   in Loop: Header=BB44_5 Depth=1
	s_mov_b32 s8, s12
	s_cmp_le_i32 s10, s8
	s_cbranch_scc0 .LBB44_13
.LBB44_18:                              ;   in Loop: Header=BB44_5 Depth=1
	s_mov_b32 s11, s10
.LBB44_19:                              ;   in Loop: Header=BB44_5 Depth=1
	s_cmp_lt_i32 s8, s11
	s_mov_b32 s10, s8
	s_cselect_b32 s1, -1, 0
	s_and_b32 s0, s0, s1
	s_andn2_b32 vcc_lo, exec_lo, s0
	s_cbranch_vccz .LBB44_23
	s_branch .LBB44_4
.LBB44_20:                              ;   in Loop: Header=BB44_23 Depth=2
	s_or_b32 exec_lo, exec_lo, s9
.LBB44_21:                              ;   in Loop: Header=BB44_23 Depth=2
	s_or_b32 exec_lo, exec_lo, s1
	v_cvt_f64_u32_e32 v[7:8], v2
	v_readfirstlane_b32 s1, v1
	v_readfirstlane_b32 s0, v0
	v_mov_b32_e32 v2, s8
	v_add_f64 v[0:1], s[0:1], v[7:8]
	v_cndmask_b32_e64 v1, v1, s1, vcc_lo
	v_cndmask_b32_e64 v0, v0, s0, vcc_lo
	v_add_f64 v[0:1], v[0:1], v[4:5]
	v_cvt_i32_f64_e32 v0, v[0:1]
	v_lshlrev_b32_e32 v0, 2, v0
	v_ashrrev_i32_e32 v1, 31, v0
	v_lshlrev_b64 v[7:8], 2, v[0:1]
	v_mov_b32_e32 v1, s10
	v_add_co_u32 v7, vcc_lo, s16, v7
	v_add_co_ci_u32_e64 v8, null, s17, v8, vcc_lo
	global_store_dwordx3 v[7:8], v[1:3], off offset:4
.LBB44_22:                              ;   in Loop: Header=BB44_23 Depth=2
	s_add_i32 s10, s8, 1
	s_mov_b32 s8, s10
	s_cmp_lt_i32 s8, s11
	s_cbranch_scc0 .LBB44_3
.LBB44_23:                              ;   Parent Loop BB44_5 Depth=1
                                        ; =>  This Loop Header: Depth=2
                                        ;       Child Loop BB44_29 Depth 3
	s_ashr_i32 s9, s8, 31
	s_mov_b32 s12, -1
	s_lshl_b64 s[0:1], s[8:9], 3
	s_add_u32 s0, s18, s0
	s_addc_u32 s1, s19, s1
	global_load_dwordx2 v[0:1], v6, s[0:1]
	s_waitcnt vmcnt(0)
	v_cmp_lt_f64_e64 s9, |v[0:1]|, s[20:21]
	s_and_b32 vcc_lo, exec_lo, s9
                                        ; implicit-def: $sgpr9
	s_cbranch_vccnz .LBB44_25
; %bb.24:                               ;   in Loop: Header=BB44_23 Depth=2
	s_add_i32 s9, s8, 1
	s_mov_b32 s12, 0
.LBB44_25:                              ;   in Loop: Header=BB44_23 Depth=2
	s_andn2_b32 vcc_lo, exec_lo, s12
	s_cbranch_vccnz .LBB44_30
; %bb.26:                               ;   in Loop: Header=BB44_23 Depth=2
	v_mov_b32_e32 v7, v6
	s_cmp_ge_i32 s10, s8
	global_store_dwordx2 v6, v[6:7], s[0:1]
	s_cbranch_scc1 .LBB44_22
; %bb.27:                               ;   in Loop: Header=BB44_23 Depth=2
	s_mov_b32 s0, exec_lo
                                        ; implicit-def: $vgpr0_vgpr1
	v_mbcnt_lo_u32_b32 v2, s0, 0
	v_cmp_eq_u32_e32 vcc_lo, 0, v2
	s_and_saveexec_b32 s1, vcc_lo
	s_cbranch_execz .LBB44_21
; %bb.28:                               ;   in Loop: Header=BB44_23 Depth=2
	global_load_dwordx2 v[0:1], v6, s[2:3] offset:24
	s_bcnt1_i32_b32 s0, s0
	s_mov_b32 s9, 0
	v_cvt_f64_u32_e32 v[7:8], s0
.LBB44_29:                              ;   Parent Loop BB44_5 Depth=1
                                        ;     Parent Loop BB44_23 Depth=2
                                        ; =>    This Inner Loop Header: Depth=3
	s_waitcnt vmcnt(0)
	v_mov_b32_e32 v13, v1
	v_mov_b32_e32 v12, v0
	v_add_f64 v[10:11], v[12:13], v[7:8]
	global_atomic_cmpswap_x2 v[0:1], v6, v[10:13], s[2:3] offset:24 glc
	s_waitcnt vmcnt(0)
	v_cmp_eq_u64_e64 s0, v[0:1], v[12:13]
	s_or_b32 s9, s0, s9
	s_andn2_b32 exec_lo, exec_lo, s9
	s_cbranch_execnz .LBB44_29
	s_branch .LBB44_20
.LBB44_30:                              ;   in Loop: Header=BB44_23 Depth=2
	s_mov_b32 s8, s9
	s_cmp_lt_i32 s8, s11
	s_cbranch_scc1 .LBB44_23
	s_branch .LBB44_3
.LBB44_31:
	s_endpgm
	.section	.rodata,"a",@progbits
	.p2align	6, 0x0
	.amdhsa_kernel _ZN9rocsolver6v33100L22bdsqr_update_endpointsI19rocblas_complex_numIdEdEEviPT0_lPiS5_lS6_
		.amdhsa_group_segment_fixed_size 0
		.amdhsa_private_segment_fixed_size 0
		.amdhsa_kernarg_size 312
		.amdhsa_user_sgpr_count 6
		.amdhsa_user_sgpr_private_segment_buffer 1
		.amdhsa_user_sgpr_dispatch_ptr 0
		.amdhsa_user_sgpr_queue_ptr 0
		.amdhsa_user_sgpr_kernarg_segment_ptr 1
		.amdhsa_user_sgpr_dispatch_id 0
		.amdhsa_user_sgpr_flat_scratch_init 0
		.amdhsa_user_sgpr_private_segment_size 0
		.amdhsa_wavefront_size32 1
		.amdhsa_uses_dynamic_stack 0
		.amdhsa_system_sgpr_private_segment_wavefront_offset 0
		.amdhsa_system_sgpr_workgroup_id_x 1
		.amdhsa_system_sgpr_workgroup_id_y 1
		.amdhsa_system_sgpr_workgroup_id_z 1
		.amdhsa_system_sgpr_workgroup_info 0
		.amdhsa_system_vgpr_workitem_id 0
		.amdhsa_next_free_vgpr 14
		.amdhsa_next_free_sgpr 24
		.amdhsa_reserve_vcc 1
		.amdhsa_reserve_flat_scratch 0
		.amdhsa_float_round_mode_32 0
		.amdhsa_float_round_mode_16_64 0
		.amdhsa_float_denorm_mode_32 3
		.amdhsa_float_denorm_mode_16_64 3
		.amdhsa_dx10_clamp 1
		.amdhsa_ieee_mode 1
		.amdhsa_fp16_overflow 0
		.amdhsa_workgroup_processor_mode 1
		.amdhsa_memory_ordered 1
		.amdhsa_forward_progress 1
		.amdhsa_shared_vgpr_count 0
		.amdhsa_exception_fp_ieee_invalid_op 0
		.amdhsa_exception_fp_denorm_src 0
		.amdhsa_exception_fp_ieee_div_zero 0
		.amdhsa_exception_fp_ieee_overflow 0
		.amdhsa_exception_fp_ieee_underflow 0
		.amdhsa_exception_fp_ieee_inexact 0
		.amdhsa_exception_int_div_zero 0
	.end_amdhsa_kernel
	.section	.text._ZN9rocsolver6v33100L22bdsqr_update_endpointsI19rocblas_complex_numIdEdEEviPT0_lPiS5_lS6_,"axG",@progbits,_ZN9rocsolver6v33100L22bdsqr_update_endpointsI19rocblas_complex_numIdEdEEviPT0_lPiS5_lS6_,comdat
.Lfunc_end44:
	.size	_ZN9rocsolver6v33100L22bdsqr_update_endpointsI19rocblas_complex_numIdEdEEviPT0_lPiS5_lS6_, .Lfunc_end44-_ZN9rocsolver6v33100L22bdsqr_update_endpointsI19rocblas_complex_numIdEdEEviPT0_lPiS5_lS6_
                                        ; -- End function
	.set _ZN9rocsolver6v33100L22bdsqr_update_endpointsI19rocblas_complex_numIdEdEEviPT0_lPiS5_lS6_.num_vgpr, 14
	.set _ZN9rocsolver6v33100L22bdsqr_update_endpointsI19rocblas_complex_numIdEdEEviPT0_lPiS5_lS6_.num_agpr, 0
	.set _ZN9rocsolver6v33100L22bdsqr_update_endpointsI19rocblas_complex_numIdEdEEviPT0_lPiS5_lS6_.numbered_sgpr, 24
	.set _ZN9rocsolver6v33100L22bdsqr_update_endpointsI19rocblas_complex_numIdEdEEviPT0_lPiS5_lS6_.num_named_barrier, 0
	.set _ZN9rocsolver6v33100L22bdsqr_update_endpointsI19rocblas_complex_numIdEdEEviPT0_lPiS5_lS6_.private_seg_size, 0
	.set _ZN9rocsolver6v33100L22bdsqr_update_endpointsI19rocblas_complex_numIdEdEEviPT0_lPiS5_lS6_.uses_vcc, 1
	.set _ZN9rocsolver6v33100L22bdsqr_update_endpointsI19rocblas_complex_numIdEdEEviPT0_lPiS5_lS6_.uses_flat_scratch, 0
	.set _ZN9rocsolver6v33100L22bdsqr_update_endpointsI19rocblas_complex_numIdEdEEviPT0_lPiS5_lS6_.has_dyn_sized_stack, 0
	.set _ZN9rocsolver6v33100L22bdsqr_update_endpointsI19rocblas_complex_numIdEdEEviPT0_lPiS5_lS6_.has_recursion, 0
	.set _ZN9rocsolver6v33100L22bdsqr_update_endpointsI19rocblas_complex_numIdEdEEviPT0_lPiS5_lS6_.has_indirect_call, 0
	.section	.AMDGPU.csdata,"",@progbits
; Kernel info:
; codeLenInByte = 972
; TotalNumSgprs: 26
; NumVgprs: 14
; ScratchSize: 0
; MemoryBound: 0
; FloatMode: 240
; IeeeMode: 1
; LDSByteSize: 0 bytes/workgroup (compile time only)
; SGPRBlocks: 0
; VGPRBlocks: 1
; NumSGPRsForWavesPerEU: 26
; NumVGPRsForWavesPerEU: 14
; Occupancy: 16
; WaveLimiterHint : 1
; COMPUTE_PGM_RSRC2:SCRATCH_EN: 0
; COMPUTE_PGM_RSRC2:USER_SGPR: 6
; COMPUTE_PGM_RSRC2:TRAP_HANDLER: 0
; COMPUTE_PGM_RSRC2:TGID_X_EN: 1
; COMPUTE_PGM_RSRC2:TGID_Y_EN: 1
; COMPUTE_PGM_RSRC2:TGID_Z_EN: 1
; COMPUTE_PGM_RSRC2:TIDIG_COMP_CNT: 0
	.section	.text._ZN9rocsolver6v33100L19bdsqr_chk_completedI19rocblas_complex_numIdEdEEviiPiPT0_lS4_,"axG",@progbits,_ZN9rocsolver6v33100L19bdsqr_chk_completedI19rocblas_complex_numIdEdEEviiPiPT0_lS4_,comdat
	.globl	_ZN9rocsolver6v33100L19bdsqr_chk_completedI19rocblas_complex_numIdEdEEviiPiPT0_lS4_ ; -- Begin function _ZN9rocsolver6v33100L19bdsqr_chk_completedI19rocblas_complex_numIdEdEEviiPiPT0_lS4_
	.p2align	8
	.type	_ZN9rocsolver6v33100L19bdsqr_chk_completedI19rocblas_complex_numIdEdEEviiPiPT0_lS4_,@function
_ZN9rocsolver6v33100L19bdsqr_chk_completedI19rocblas_complex_numIdEdEEviiPiPT0_lS4_: ; @_ZN9rocsolver6v33100L19bdsqr_chk_completedI19rocblas_complex_numIdEdEEviiPiPT0_lS4_
; %bb.0:
	s_load_dwordx8 s[8:15], s[4:5], 0x8
	s_mov_b32 s2, s7
	s_ashr_i32 s3, s7, 31
	s_lshl_b64 s[0:1], s[2:3], 2
	s_waitcnt lgkmcnt(0)
	s_add_u32 s0, s14, s0
	s_addc_u32 s1, s15, s1
	s_load_dword s6, s[0:1], 0x8
	s_waitcnt lgkmcnt(0)
	s_cmp_lg_u32 s6, 0
	s_cbranch_scc0 .LBB45_2
.LBB45_1:
	s_endpgm
.LBB45_2:
	s_mul_i32 s3, s12, s3
	s_mul_hi_u32 s6, s12, s2
	s_mul_i32 s7, s13, s2
	s_add_i32 s3, s6, s3
	s_mul_i32 s6, s12, s2
	s_add_i32 s7, s3, s7
	s_load_dword s3, s[14:15], 0x4
	s_lshl_b64 s[6:7], s[6:7], 3
	v_mov_b32_e32 v2, 0
	s_add_u32 s6, s10, s6
	s_addc_u32 s7, s11, s7
	s_load_dwordx4 s[16:19], s[6:7], 0x10
	v_mov_b32_e32 v3, v2
	s_waitcnt lgkmcnt(0)
	v_add_f64 v[0:1], s[16:17], s[18:19]
	v_cvt_i32_f64_e32 v4, v[0:1]
	v_cvt_f64_i32_e32 v[0:1], v4
	v_cmp_ge_i32_e32 vcc_lo, s3, v4
	global_store_dwordx4 v2, v[0:3], s[6:7] offset:16
	s_cbranch_vccnz .LBB45_6
; %bb.3:
	v_mov_b32_e32 v5, s3
	s_mov_b32 s3, 0
.LBB45_4:                               ; =>This Inner Loop Header: Depth=1
	global_atomic_cmpswap v5, v2, v[4:5], s[14:15] offset:4 glc
	s_waitcnt vmcnt(0)
	v_cmp_ge_i32_e32 vcc_lo, v5, v4
	s_or_b32 s3, vcc_lo, s3
	s_andn2_b32 exec_lo, exec_lo, s3
	s_cbranch_execnz .LBB45_4
; %bb.5:
	s_or_b32 exec_lo, exec_lo, s3
.LBB45_6:
	v_cmp_gt_i32_e32 vcc_lo, 1, v4
	s_cbranch_vccnz .LBB45_14
; %bb.7:
	s_load_dwordx2 s[4:5], s[4:5], 0x0
	v_mov_b32_e32 v0, 0
	s_waitcnt lgkmcnt(0)
	s_mul_i32 s2, s2, s4
	s_lshl_b32 s2, s2, 1
	s_ashr_i32 s3, s2, 31
	s_lshl_b64 s[2:3], s[2:3], 2
	s_add_u32 s2, s8, s2
	s_addc_u32 s3, s9, s3
	s_add_u32 s2, s2, 12
	s_addc_u32 s3, s3, 0
	s_branch .LBB45_9
	.p2align	6
.LBB45_8:                               ;   in Loop: Header=BB45_9 Depth=1
	v_add_nc_u32_e32 v4, -1, v4
	s_add_u32 s2, s2, 16
	s_addc_u32 s3, s3, 0
	s_mov_b32 s4, 0
	v_cmp_eq_u32_e64 s6, 0, v4
	s_andn2_b32 vcc_lo, exec_lo, s6
	s_cbranch_vccz .LBB45_13
.LBB45_9:                               ; =>This Inner Loop Header: Depth=1
	global_load_dwordx2 v[1:2], v0, s[2:3] offset:-8
	s_mov_b32 s4, -1
	s_waitcnt vmcnt(0)
	v_cmp_ge_i32_e32 vcc_lo, v1, v2
	s_cbranch_vccnz .LBB45_11
; %bb.10:                               ;   in Loop: Header=BB45_9 Depth=1
	global_load_dword v1, v0, s[2:3]
	s_waitcnt vmcnt(0)
	v_cmp_le_i32_e64 s4, s5, v1
.LBB45_11:                              ;   in Loop: Header=BB45_9 Depth=1
	s_andn2_b32 vcc_lo, exec_lo, s4
	s_cbranch_vccz .LBB45_8
; %bb.12:
	s_mov_b32 s4, -1
                                        ; implicit-def: $vgpr4
                                        ; implicit-def: $sgpr2_sgpr3
.LBB45_13:
	s_xor_b32 s2, s4, -1
	s_and_b32 vcc_lo, exec_lo, s2
	s_cbranch_vccz .LBB45_1
	s_branch .LBB45_15
.LBB45_14:
	s_cbranch_execz .LBB45_1
.LBB45_15:
	s_mov_b32 s2, exec_lo
	v_mov_b32_e32 v0, 0
	v_mbcnt_lo_u32_b32 v1, s2, 0
	v_mov_b32_e32 v2, 1
	global_store_dword v0, v2, s[0:1] offset:8
	s_mov_b32 s0, exec_lo
	v_cmpx_eq_u32_e32 0, v1
	s_cbranch_execz .LBB45_1
; %bb.16:
	s_bcnt1_i32_b32 s0, s2
	v_mov_b32_e32 v1, s0
	global_atomic_add v0, v1, s[14:15]
	s_endpgm
	.section	.rodata,"a",@progbits
	.p2align	6, 0x0
	.amdhsa_kernel _ZN9rocsolver6v33100L19bdsqr_chk_completedI19rocblas_complex_numIdEdEEviiPiPT0_lS4_
		.amdhsa_group_segment_fixed_size 0
		.amdhsa_private_segment_fixed_size 0
		.amdhsa_kernarg_size 40
		.amdhsa_user_sgpr_count 6
		.amdhsa_user_sgpr_private_segment_buffer 1
		.amdhsa_user_sgpr_dispatch_ptr 0
		.amdhsa_user_sgpr_queue_ptr 0
		.amdhsa_user_sgpr_kernarg_segment_ptr 1
		.amdhsa_user_sgpr_dispatch_id 0
		.amdhsa_user_sgpr_flat_scratch_init 0
		.amdhsa_user_sgpr_private_segment_size 0
		.amdhsa_wavefront_size32 1
		.amdhsa_uses_dynamic_stack 0
		.amdhsa_system_sgpr_private_segment_wavefront_offset 0
		.amdhsa_system_sgpr_workgroup_id_x 1
		.amdhsa_system_sgpr_workgroup_id_y 1
		.amdhsa_system_sgpr_workgroup_id_z 0
		.amdhsa_system_sgpr_workgroup_info 0
		.amdhsa_system_vgpr_workitem_id 0
		.amdhsa_next_free_vgpr 6
		.amdhsa_next_free_sgpr 20
		.amdhsa_reserve_vcc 1
		.amdhsa_reserve_flat_scratch 0
		.amdhsa_float_round_mode_32 0
		.amdhsa_float_round_mode_16_64 0
		.amdhsa_float_denorm_mode_32 3
		.amdhsa_float_denorm_mode_16_64 3
		.amdhsa_dx10_clamp 1
		.amdhsa_ieee_mode 1
		.amdhsa_fp16_overflow 0
		.amdhsa_workgroup_processor_mode 1
		.amdhsa_memory_ordered 1
		.amdhsa_forward_progress 1
		.amdhsa_shared_vgpr_count 0
		.amdhsa_exception_fp_ieee_invalid_op 0
		.amdhsa_exception_fp_denorm_src 0
		.amdhsa_exception_fp_ieee_div_zero 0
		.amdhsa_exception_fp_ieee_overflow 0
		.amdhsa_exception_fp_ieee_underflow 0
		.amdhsa_exception_fp_ieee_inexact 0
		.amdhsa_exception_int_div_zero 0
	.end_amdhsa_kernel
	.section	.text._ZN9rocsolver6v33100L19bdsqr_chk_completedI19rocblas_complex_numIdEdEEviiPiPT0_lS4_,"axG",@progbits,_ZN9rocsolver6v33100L19bdsqr_chk_completedI19rocblas_complex_numIdEdEEviiPiPT0_lS4_,comdat
.Lfunc_end45:
	.size	_ZN9rocsolver6v33100L19bdsqr_chk_completedI19rocblas_complex_numIdEdEEviiPiPT0_lS4_, .Lfunc_end45-_ZN9rocsolver6v33100L19bdsqr_chk_completedI19rocblas_complex_numIdEdEEviiPiPT0_lS4_
                                        ; -- End function
	.set _ZN9rocsolver6v33100L19bdsqr_chk_completedI19rocblas_complex_numIdEdEEviiPiPT0_lS4_.num_vgpr, 6
	.set _ZN9rocsolver6v33100L19bdsqr_chk_completedI19rocblas_complex_numIdEdEEviiPiPT0_lS4_.num_agpr, 0
	.set _ZN9rocsolver6v33100L19bdsqr_chk_completedI19rocblas_complex_numIdEdEEviiPiPT0_lS4_.numbered_sgpr, 20
	.set _ZN9rocsolver6v33100L19bdsqr_chk_completedI19rocblas_complex_numIdEdEEviiPiPT0_lS4_.num_named_barrier, 0
	.set _ZN9rocsolver6v33100L19bdsqr_chk_completedI19rocblas_complex_numIdEdEEviiPiPT0_lS4_.private_seg_size, 0
	.set _ZN9rocsolver6v33100L19bdsqr_chk_completedI19rocblas_complex_numIdEdEEviiPiPT0_lS4_.uses_vcc, 1
	.set _ZN9rocsolver6v33100L19bdsqr_chk_completedI19rocblas_complex_numIdEdEEviiPiPT0_lS4_.uses_flat_scratch, 0
	.set _ZN9rocsolver6v33100L19bdsqr_chk_completedI19rocblas_complex_numIdEdEEviiPiPT0_lS4_.has_dyn_sized_stack, 0
	.set _ZN9rocsolver6v33100L19bdsqr_chk_completedI19rocblas_complex_numIdEdEEviiPiPT0_lS4_.has_recursion, 0
	.set _ZN9rocsolver6v33100L19bdsqr_chk_completedI19rocblas_complex_numIdEdEEviiPiPT0_lS4_.has_indirect_call, 0
	.section	.AMDGPU.csdata,"",@progbits
; Kernel info:
; codeLenInByte = 424
; TotalNumSgprs: 22
; NumVgprs: 6
; ScratchSize: 0
; MemoryBound: 0
; FloatMode: 240
; IeeeMode: 1
; LDSByteSize: 0 bytes/workgroup (compile time only)
; SGPRBlocks: 0
; VGPRBlocks: 0
; NumSGPRsForWavesPerEU: 22
; NumVGPRsForWavesPerEU: 6
; Occupancy: 16
; WaveLimiterHint : 0
; COMPUTE_PGM_RSRC2:SCRATCH_EN: 0
; COMPUTE_PGM_RSRC2:USER_SGPR: 6
; COMPUTE_PGM_RSRC2:TRAP_HANDLER: 0
; COMPUTE_PGM_RSRC2:TGID_X_EN: 1
; COMPUTE_PGM_RSRC2:TGID_Y_EN: 1
; COMPUTE_PGM_RSRC2:TGID_Z_EN: 0
; COMPUTE_PGM_RSRC2:TIDIG_COMP_CNT: 0
	.section	.text._ZN9rocsolver6v33100L14bdsqr_finalizeI19rocblas_complex_numIdEdPS3_S4_S4_EEviiiiPT0_lS6_lT1_iilT2_iilT3_iilPiSA_SA_,"axG",@progbits,_ZN9rocsolver6v33100L14bdsqr_finalizeI19rocblas_complex_numIdEdPS3_S4_S4_EEviiiiPT0_lS6_lT1_iilT2_iilT3_iilPiSA_SA_,comdat
	.globl	_ZN9rocsolver6v33100L14bdsqr_finalizeI19rocblas_complex_numIdEdPS3_S4_S4_EEviiiiPT0_lS6_lT1_iilT2_iilT3_iilPiSA_SA_ ; -- Begin function _ZN9rocsolver6v33100L14bdsqr_finalizeI19rocblas_complex_numIdEdPS3_S4_S4_EEviiiiPT0_lS6_lT1_iilT2_iilT3_iilPiSA_SA_
	.p2align	8
	.type	_ZN9rocsolver6v33100L14bdsqr_finalizeI19rocblas_complex_numIdEdPS3_S4_S4_EEviiiiPT0_lS6_lT1_iilT2_iilT3_iilPiSA_SA_,@function
_ZN9rocsolver6v33100L14bdsqr_finalizeI19rocblas_complex_numIdEdPS3_S4_S4_EEviiiiPT0_lS6_lT1_iilT2_iilT3_iilPiSA_SA_: ; @_ZN9rocsolver6v33100L14bdsqr_finalizeI19rocblas_complex_numIdEdPS3_S4_S4_EEviiiiPT0_lS6_lT1_iilT2_iilT3_iilPiSA_SA_
; %bb.0:
	s_add_u32 s8, s8, s12
	s_movk_i32 s32, 0x600
	s_addc_u32 s9, s9, 0
	s_setreg_b32 hwreg(HW_REG_FLAT_SCR_LO), s8
	s_setreg_b32 hwreg(HW_REG_FLAT_SCR_HI), s9
	s_load_dwordx8 s[36:43], s[6:7], 0x70
	s_add_u32 s0, s0, s12
	s_addc_u32 s1, s1, 0
	s_mov_b32 s12, s11
	s_ashr_i32 s13, s11, 31
	s_lshl_b64 s[26:27], s[12:13], 2
	s_waitcnt lgkmcnt(0)
	s_add_u32 s8, s42, s26
	s_addc_u32 s9, s43, s27
	s_load_dword s8, s[8:9], 0x8
	s_waitcnt lgkmcnt(0)
	s_cmp_gt_i32 s8, 1
	s_cbranch_scc1 .LBB46_310
; %bb.1:
	s_clause 0x2
	s_load_dwordx2 s[14:15], s[6:7], 0x9c
	s_load_dwordx8 s[44:51], s[6:7], 0x30
	s_load_dwordx8 s[52:59], s[6:7], 0x10
	s_mov_b64 s[28:29], 0
	s_mov_b64 s[34:35], 0
	s_waitcnt lgkmcnt(0)
	s_and_b32 s15, s15, 0xffff
	s_cmp_eq_u64 s[44:45], 0
	s_cbranch_scc1 .LBB46_3
; %bb.2:
	s_mul_i32 s8, s48, s13
	s_mul_hi_u32 s9, s48, s12
	s_mul_i32 s10, s49, s12
	s_add_i32 s8, s9, s8
	s_ashr_i32 s11, s46, 31
	s_add_i32 s9, s8, s10
	s_mul_i32 s8, s48, s12
	s_mov_b32 s10, s46
	s_lshl_b64 s[8:9], s[8:9], 4
	s_add_u32 s16, s44, s8
	s_addc_u32 s17, s45, s9
	s_lshl_b64 s[8:9], s[10:11], 4
	s_add_u32 s34, s16, s8
	s_addc_u32 s35, s17, s9
.LBB46_3:
	s_clause 0x1
	s_load_dwordx2 s[42:43], s[6:7], 0x50
	s_load_dwordx4 s[8:11], s[6:7], 0x58
	s_cmp_eq_u64 s[50:51], 0
	s_cbranch_scc1 .LBB46_5
; %bb.4:
	s_waitcnt lgkmcnt(0)
	s_mul_i32 s16, s8, s13
	s_mul_hi_u32 s17, s8, s12
	s_mul_i32 s9, s9, s12
	s_add_i32 s16, s17, s16
	s_mul_i32 s8, s8, s12
	s_add_i32 s9, s16, s9
	s_ashr_i32 s17, s42, 31
	s_lshl_b64 s[8:9], s[8:9], 4
	s_mov_b32 s16, s42
	s_add_u32 s18, s50, s8
	s_addc_u32 s19, s51, s9
	s_lshl_b64 s[8:9], s[16:17], 4
	s_add_u32 s28, s18, s8
	s_addc_u32 s29, s19, s9
.LBB46_5:
	s_load_dwordx2 s[60:61], s[6:7], 0x68
	s_waitcnt lgkmcnt(0)
	s_cmp_eq_u64 s[10:11], 0
	s_mov_b64 s[44:45], 0
	s_cbranch_scc1 .LBB46_7
; %bb.6:
	s_mul_i32 s8, s36, s13
	s_mul_hi_u32 s9, s36, s12
	s_mul_i32 s16, s37, s12
	s_add_i32 s8, s9, s8
	s_ashr_i32 s17, s60, 31
	s_add_i32 s9, s8, s16
	s_mul_i32 s8, s36, s12
	s_mov_b32 s16, s60
	s_lshl_b64 s[8:9], s[8:9], 4
	s_add_u32 s10, s10, s8
	s_addc_u32 s11, s11, s9
	s_lshl_b64 s[8:9], s[16:17], 4
	s_add_u32 s44, s10, s8
	s_addc_u32 s45, s11, s9
.LBB46_7:
	s_mul_i32 s8, s54, s13
	s_mul_hi_u32 s9, s54, s12
	s_mul_i32 s10, s55, s12
	s_add_i32 s9, s9, s8
	s_mul_i32 s8, s54, s12
	s_add_i32 s9, s9, s10
	s_load_dwordx4 s[48:51], s[6:7], 0x0
	s_lshl_b64 s[54:55], s[8:9], 3
	s_add_u32 s36, s52, s54
	s_addc_u32 s37, s53, s55
	s_lshr_b32 s8, s14, 16
	s_and_b32 s25, s14, 0xffff
	s_and_b32 s9, s15, 0xffff
	s_mul_i32 s46, s8, s25
	v_mul_u32_u24_e32 v4, s25, v1
	v_mul_lo_u32 v3, s46, v2
	s_mul_i32 s46, s46, s9
	v_add3_u32 v40, v4, v0, v3
	s_waitcnt lgkmcnt(0)
	s_cmp_lt_i32 s48, 1
	v_cmp_eq_u32_e64 s8, 0, v40
	s_cbranch_scc1 .LBB46_22
; %bb.8:
	s_mul_i32 s9, s58, s13
	s_mul_hi_u32 s10, s58, s12
	s_mul_i32 s11, s59, s12
	s_add_i32 s9, s10, s9
	s_mul_i32 s10, s58, s12
	s_add_i32 s11, s9, s11
	v_cmp_gt_u32_e64 s9, s49, v40
	s_lshl_b64 s[10:11], s[10:11], 3
	v_mov_b32_e32 v3, 0
	s_add_u32 s13, s56, s10
	s_addc_u32 s16, s57, s11
	s_add_i32 s17, s48, -1
	s_cmp_lg_u32 s49, 0
	s_mov_b32 s11, 0
	s_cselect_b32 s18, -1, 0
	s_ashr_i32 s19, s47, 31
	s_mov_b32 s20, s47
	s_mov_b32 s10, s11
	;; [unrolled: 1-line block ×3, first 2 shown]
	s_branch .LBB46_11
.LBB46_9:                               ;   in Loop: Header=BB46_11 Depth=1
	s_or_b32 exec_lo, exec_lo, s21
.LBB46_10:                              ;   in Loop: Header=BB46_11 Depth=1
	s_add_i32 s10, s10, 1
	s_cmp_eq_u32 s10, s48
	s_cbranch_scc1 .LBB46_23
.LBB46_11:                              ; =>This Loop Header: Depth=1
                                        ;     Child Loop BB46_18 Depth 2
	s_cmp_ge_i32 s10, s17
	s_cbranch_scc1 .LBB46_14
; %bb.12:                               ;   in Loop: Header=BB46_11 Depth=1
	s_lshl_b64 s[14:15], s[10:11], 3
	s_add_u32 s14, s13, s14
	s_addc_u32 s15, s16, s15
	global_load_dwordx2 v[4:5], v3, s[14:15]
	s_waitcnt vmcnt(0)
	v_cmp_eq_f64_e32 vcc_lo, 0, v[4:5]
	s_cbranch_vccnz .LBB46_14
; %bb.13:                               ;   in Loop: Header=BB46_11 Depth=1
	s_add_i32 s42, s42, 1
.LBB46_14:                              ;   in Loop: Header=BB46_11 Depth=1
	s_lshl_b64 s[14:15], s[10:11], 3
	s_add_u32 s14, s36, s14
	s_addc_u32 s15, s37, s15
	global_load_dwordx2 v[4:5], v3, s[14:15]
	s_waitcnt vmcnt(0)
	v_cmp_ngt_f64_e32 vcc_lo, 0, v[4:5]
	s_cbranch_vccnz .LBB46_10
; %bb.15:                               ;   in Loop: Header=BB46_11 Depth=1
	s_andn2_b32 vcc_lo, exec_lo, s18
	s_cbranch_vccnz .LBB46_20
; %bb.16:                               ;   in Loop: Header=BB46_11 Depth=1
	s_and_saveexec_b32 s21, s9
	s_cbranch_execz .LBB46_19
; %bb.17:                               ;   in Loop: Header=BB46_11 Depth=1
	s_lshl_b64 s[22:23], s[10:11], 4
	v_mov_b32_e32 v4, v40
	s_add_u32 s22, s34, s22
	s_addc_u32 s23, s35, s23
	s_mov_b32 s24, 0
	.p2align	6
.LBB46_18:                              ;   Parent Loop BB46_11 Depth=1
                                        ; =>  This Inner Loop Header: Depth=2
	v_mad_u64_u32 v[5:6], null, v4, s20, 0
	v_mad_u64_u32 v[6:7], null, v4, s19, v[6:7]
	v_add_nc_u32_e32 v4, s46, v4
	v_lshlrev_b64 v[5:6], 4, v[5:6]
	v_add_co_u32 v9, vcc_lo, s22, v5
	v_add_co_ci_u32_e64 v10, null, s23, v6, vcc_lo
	v_cmp_le_u32_e32 vcc_lo, s49, v4
	global_load_dwordx4 v[5:8], v[9:10], off
	s_or_b32 s24, vcc_lo, s24
	s_waitcnt vmcnt(0)
	v_xor_b32_e32 v6, 0x80000000, v6
	v_xor_b32_e32 v8, 0x80000000, v8
	global_store_dwordx4 v[9:10], v[5:8], off
	s_andn2_b32 exec_lo, exec_lo, s24
	s_cbranch_execnz .LBB46_18
.LBB46_19:                              ;   in Loop: Header=BB46_11 Depth=1
	s_or_b32 exec_lo, exec_lo, s21
	s_waitcnt_vscnt null, 0x0
	s_barrier
	buffer_gl0_inv
.LBB46_20:                              ;   in Loop: Header=BB46_11 Depth=1
	s_and_saveexec_b32 s21, s8
	s_cbranch_execz .LBB46_9
; %bb.21:                               ;   in Loop: Header=BB46_11 Depth=1
	global_load_dwordx2 v[4:5], v3, s[14:15]
	s_waitcnt vmcnt(0)
	v_xor_b32_e32 v5, 0x80000000, v5
	global_store_dwordx2 v3, v[4:5], s[14:15]
	s_branch .LBB46_9
.LBB46_22:
	s_mov_b32 s42, 0
.LBB46_23:
	s_cmp_lt_i32 s42, 1
	s_mov_b32 s8, -1
	s_cbranch_scc0 .LBB46_307
; %bb.24:
	s_load_dwordx2 s[4:5], s[4:5], 0x4
	s_mul_i32 s8, s12, s48
	s_mov_b32 s56, 0
	s_lshl_b32 s8, s8, 1
	s_waitcnt lgkmcnt(0)
	s_waitcnt_vscnt null, 0x0
	s_ashr_i32 s9, s8, 31
	s_barrier
	s_lshl_b64 s[8:9], s[8:9], 2
	buffer_gl0_inv
	s_add_u32 s8, s40, s8
	s_addc_u32 s9, s41, s9
	s_cmp_lg_u64 s[40:41], 0
	s_cselect_b32 s41, s9, 0
	s_cselect_b32 s40, s8, 0
	s_lshr_b32 s4, s4, 16
	v_mul_u32_u24_e32 v4, s5, v1
	s_mul_i32 s4, s4, s5
	s_cmp_lg_u64 s[40:41], 0
	v_mul_lo_u32 v3, s4, v0
	v_add3_u32 v41, v3, v4, v2
	s_cbranch_scc0 .LBB46_43
; %bb.25:
	s_or_b32 s4, s50, s49
	s_or_b32 s4, s4, s51
	s_cmp_gt_i32 s48, 0
	s_cselect_b32 s60, -1, 0
	s_cmp_lg_u64 s[52:53], 0
	s_cselect_b32 s5, -1, 0
	s_and_b32 s58, s60, s5
	s_cmp_eq_u32 s4, 0
	s_cbranch_scc1 .LBB46_44
; %bb.26:
	s_mov_b32 s62, -1
	s_mov_b32 s59, 0
	s_and_b32 vcc_lo, exec_lo, s58
	s_cbranch_vccz .LBB46_142
; %bb.27:
	s_mov_b32 s4, exec_lo
	s_barrier
	buffer_gl0_inv
	v_cmpx_gt_u32_e64 s48, v40
	s_cbranch_execz .LBB46_30
; %bb.28:
	v_mov_b32_e32 v4, 0
	v_mov_b32_e32 v3, v40
	s_mov_b32 s5, 0
.LBB46_29:                              ; =>This Inner Loop Header: Depth=1
	v_lshlrev_b64 v[5:6], 2, v[3:4]
	v_add_co_u32 v5, vcc_lo, s40, v5
	v_add_co_ci_u32_e64 v6, null, s41, v6, vcc_lo
	global_store_dword v[5:6], v3, off
	v_add_nc_u32_e32 v3, s46, v3
	v_cmp_le_u32_e32 vcc_lo, s48, v3
	s_or_b32 s5, vcc_lo, s5
	s_andn2_b32 exec_lo, exec_lo, s5
	s_cbranch_execnz .LBB46_29
.LBB46_30:
	s_or_b32 exec_lo, exec_lo, s4
	v_or3_b32 v3, v1, v2, v0
	s_mov_b32 s18, exec_lo
	s_waitcnt_vscnt null, 0x0
	s_barrier
	buffer_gl0_inv
	v_cmpx_eq_u32_e32 0, v3
	s_cbranch_execz .LBB46_126
; %bb.31:
	s_cmpk_lt_u32 s48, 0x2be
	s_cbranch_scc1 .LBB46_45
; %bb.32:
	v_mov_b32_e32 v7, 0
	v_mov_b32_e32 v8, 0x1000
	;; [unrolled: 1-line block ×3, first 2 shown]
	s_movk_i32 s4, 0x2bd
	s_movk_i32 s16, 0x57a
	s_mov_b32 s5, 0
	s_mov_b64 s[8:9], s[36:37]
	s_mov_b64 s[10:11], s[40:41]
	s_branch .LBB46_34
.LBB46_33:                              ;   in Loop: Header=BB46_34 Depth=1
	s_ashr_i32 s13, s12, 31
	s_lshl_b64 s[14:15], s[12:13], 3
	s_add_u32 s14, s36, s14
	s_addc_u32 s15, s37, s15
	s_lshl_b64 s[12:13], s[12:13], 2
	s_add_u32 s12, s40, s12
	s_addc_u32 s13, s41, s13
	s_add_i32 s4, s4, 1
	s_add_i32 s16, s16, 1
	s_add_u32 s10, s10, 4
	s_addc_u32 s11, s11, 0
	s_add_u32 s8, s8, 8
	s_addc_u32 s9, s9, 0
	s_cmp_eq_u32 s4, s48
	global_store_dwordx2 v7, v[3:4], s[14:15]
	global_store_dword v7, v10, s[12:13]
	s_cbranch_scc1 .LBB46_45
.LBB46_34:                              ; =>This Loop Header: Depth=1
                                        ;     Child Loop BB46_35 Depth 2
	s_lshl_b64 s[12:13], s[4:5], 3
	s_mov_b32 s17, s16
	s_add_u32 s12, s36, s12
	s_addc_u32 s13, s37, s13
	s_lshl_b64 s[14:15], s[4:5], 2
	s_add_u32 s14, s40, s14
	s_addc_u32 s15, s41, s15
	s_clause 0x1
	global_load_dwordx2 v[3:4], v7, s[12:13]
	global_load_dword v10, v7, s[14:15]
	s_mov_b64 s[12:13], s[8:9]
	s_mov_b64 s[14:15], s[10:11]
	.p2align	6
.LBB46_35:                              ;   Parent Loop BB46_34 Depth=1
                                        ; =>  This Inner Loop Header: Depth=2
	global_load_dwordx2 v[5:6], v7, s[12:13]
	s_mov_b32 s20, -1
	s_mov_b32 s21, -1
                                        ; implicit-def: $sgpr19
	s_waitcnt vmcnt(0)
	v_cmp_nlt_f64_e32 vcc_lo, v[5:6], v[3:4]
	s_cbranch_vccnz .LBB46_37
; %bb.36:                               ;   in Loop: Header=BB46_35 Depth=2
	global_load_dword v11, v7, s[14:15]
	s_add_i32 s19, s17, 0xfffffd43
	global_store_dwordx2 v8, v[5:6], s[12:13] offset:1512
	s_mov_b32 s20, 0
	s_waitcnt vmcnt(0)
	global_store_dword v9, v11, s[14:15] offset:756
	s_add_u32 s14, s14, 0xfffff50c
	s_addc_u32 s15, s15, -1
	s_add_u32 s12, s12, 0xffffea18
	s_addc_u32 s13, s13, -1
	s_cmpk_lt_i32 s19, 0x57a
	s_cselect_b32 s21, -1, 0
.LBB46_37:                              ;   in Loop: Header=BB46_35 Depth=2
	s_andn2_b32 vcc_lo, exec_lo, s21
	s_cbranch_vccz .LBB46_39
; %bb.38:                               ;   in Loop: Header=BB46_35 Depth=2
	s_mov_b32 s17, s19
	s_branch .LBB46_35
.LBB46_39:                              ;   in Loop: Header=BB46_34 Depth=1
	s_andn2_b32 vcc_lo, exec_lo, s20
	s_mov_b32 s13, -1
                                        ; implicit-def: $sgpr12
	s_cbranch_vccz .LBB46_41
; %bb.40:                               ;   in Loop: Header=BB46_34 Depth=1
	s_add_i32 s12, s19, 0xfffffd43
	s_mov_b32 s13, 0
.LBB46_41:                              ;   in Loop: Header=BB46_34 Depth=1
	s_andn2_b32 vcc_lo, exec_lo, s13
	s_cbranch_vccnz .LBB46_33
; %bb.42:                               ;   in Loop: Header=BB46_34 Depth=1
	s_add_i32 s12, s17, 0xfffffd43
	s_branch .LBB46_33
.LBB46_43:
	s_branch .LBB46_283
.LBB46_44:
	s_mov_b32 s59, 0
	s_cbranch_execnz .LBB46_167
	s_branch .LBB46_278
.LBB46_45:
	s_cmpk_lt_i32 s48, 0x12e
	s_cbranch_scc1 .LBB46_57
; %bb.46:
	v_mov_b32_e32 v7, 0
	v_mov_b32_e32 v8, 0x800
	s_add_u32 s4, s40, 0x4b4
	s_addc_u32 s5, s41, 0
	s_movk_i32 s8, 0x12d
	s_movk_i32 s16, 0x25a
	s_mov_b32 s9, 0
	s_mov_b64 s[10:11], s[36:37]
	s_branch .LBB46_48
.LBB46_47:                              ;   in Loop: Header=BB46_48 Depth=1
	s_ashr_i32 s13, s12, 31
	s_lshl_b64 s[14:15], s[12:13], 3
	s_add_u32 s14, s36, s14
	s_addc_u32 s15, s37, s15
	s_lshl_b64 s[12:13], s[12:13], 2
	s_add_u32 s12, s40, s12
	s_addc_u32 s13, s41, s13
	s_add_i32 s8, s8, 1
	s_add_i32 s16, s16, 1
	s_add_u32 s10, s10, 8
	s_addc_u32 s11, s11, 0
	s_add_u32 s4, s4, 4
	s_addc_u32 s5, s5, 0
	s_cmp_lg_u32 s8, s48
	global_store_dwordx2 v7, v[3:4], s[14:15]
	global_store_dword v7, v9, s[12:13]
	s_cbranch_scc0 .LBB46_57
.LBB46_48:                              ; =>This Loop Header: Depth=1
                                        ;     Child Loop BB46_49 Depth 2
	s_lshl_b64 s[12:13], s[8:9], 3
	s_mov_b32 s17, s16
	s_add_u32 s12, s36, s12
	s_addc_u32 s13, s37, s13
	s_lshl_b64 s[14:15], s[8:9], 2
	s_add_u32 s14, s40, s14
	s_addc_u32 s15, s41, s15
	s_clause 0x1
	global_load_dwordx2 v[3:4], v7, s[12:13]
	global_load_dword v9, v7, s[14:15]
	s_mov_b64 s[14:15], s[4:5]
	s_mov_b64 s[12:13], s[10:11]
	.p2align	6
.LBB46_49:                              ;   Parent Loop BB46_48 Depth=1
                                        ; =>  This Inner Loop Header: Depth=2
	global_load_dwordx2 v[5:6], v7, s[12:13]
	s_mov_b32 s20, -1
	s_mov_b32 s21, -1
                                        ; implicit-def: $sgpr19
	s_waitcnt vmcnt(0)
	v_cmp_nlt_f64_e32 vcc_lo, v[5:6], v[3:4]
	s_cbranch_vccnz .LBB46_51
; %bb.50:                               ;   in Loop: Header=BB46_49 Depth=2
	global_load_dword v10, v7, s[14:15] offset:-1204
	s_add_u32 s22, s14, 0xfffffb4c
	s_addc_u32 s23, s15, -1
	s_add_i32 s19, s17, 0xfffffed3
	global_store_dwordx2 v8, v[5:6], s[12:13] offset:360
	s_add_u32 s12, s12, 0xfffff698
	s_addc_u32 s13, s13, -1
	s_cmpk_lt_i32 s19, 0x25a
	s_mov_b32 s20, 0
	s_cselect_b32 s21, -1, 0
	s_waitcnt vmcnt(0)
	global_store_dword v7, v10, s[14:15]
	s_mov_b64 s[14:15], s[22:23]
.LBB46_51:                              ;   in Loop: Header=BB46_49 Depth=2
	s_andn2_b32 vcc_lo, exec_lo, s21
	s_cbranch_vccz .LBB46_53
; %bb.52:                               ;   in Loop: Header=BB46_49 Depth=2
	s_mov_b32 s17, s19
	s_branch .LBB46_49
.LBB46_53:                              ;   in Loop: Header=BB46_48 Depth=1
	s_andn2_b32 vcc_lo, exec_lo, s20
	s_mov_b32 s13, -1
                                        ; implicit-def: $sgpr12
	s_cbranch_vccz .LBB46_55
; %bb.54:                               ;   in Loop: Header=BB46_48 Depth=1
	s_add_i32 s12, s19, 0xfffffed3
	s_mov_b32 s13, 0
.LBB46_55:                              ;   in Loop: Header=BB46_48 Depth=1
	s_andn2_b32 vcc_lo, exec_lo, s13
	s_cbranch_vccnz .LBB46_47
; %bb.56:                               ;   in Loop: Header=BB46_48 Depth=1
	s_add_i32 s12, s17, 0xfffffed3
	s_branch .LBB46_47
.LBB46_57:
	s_cmpk_lt_i32 s48, 0x85
	s_cbranch_scc1 .LBB46_69
; %bb.58:
	v_mov_b32_e32 v7, 0
	s_add_u32 s4, s40, 0x210
	s_addc_u32 s5, s41, 0
	s_movk_i32 s8, 0x84
	s_movk_i32 s16, 0x108
	s_mov_b32 s9, 0
	s_mov_b64 s[10:11], s[36:37]
	s_branch .LBB46_60
.LBB46_59:                              ;   in Loop: Header=BB46_60 Depth=1
	s_ashr_i32 s13, s12, 31
	s_lshl_b64 s[14:15], s[12:13], 3
	s_add_u32 s14, s36, s14
	s_addc_u32 s15, s37, s15
	s_lshl_b64 s[12:13], s[12:13], 2
	s_add_u32 s12, s40, s12
	s_addc_u32 s13, s41, s13
	s_add_i32 s8, s8, 1
	s_add_i32 s16, s16, 1
	s_add_u32 s4, s4, 4
	s_addc_u32 s5, s5, 0
	s_add_u32 s10, s10, 8
	s_addc_u32 s11, s11, 0
	s_cmp_lg_u32 s8, s48
	global_store_dwordx2 v7, v[3:4], s[14:15]
	global_store_dword v7, v8, s[12:13]
	s_cbranch_scc0 .LBB46_69
.LBB46_60:                              ; =>This Loop Header: Depth=1
                                        ;     Child Loop BB46_61 Depth 2
	s_lshl_b64 s[12:13], s[8:9], 3
	s_mov_b32 s17, s16
	s_add_u32 s12, s36, s12
	s_addc_u32 s13, s37, s13
	s_lshl_b64 s[14:15], s[8:9], 2
	s_add_u32 s14, s40, s14
	s_addc_u32 s15, s41, s15
	s_clause 0x1
	global_load_dwordx2 v[3:4], v7, s[12:13]
	global_load_dword v8, v7, s[14:15]
	s_mov_b64 s[12:13], s[10:11]
	s_mov_b64 s[14:15], s[4:5]
	.p2align	6
.LBB46_61:                              ;   Parent Loop BB46_60 Depth=1
                                        ; =>  This Inner Loop Header: Depth=2
	global_load_dwordx2 v[5:6], v7, s[12:13]
	s_mov_b32 s20, -1
	s_mov_b32 s21, -1
                                        ; implicit-def: $sgpr19
	s_waitcnt vmcnt(0)
	v_cmp_nlt_f64_e32 vcc_lo, v[5:6], v[3:4]
	s_cbranch_vccnz .LBB46_63
; %bb.62:                               ;   in Loop: Header=BB46_61 Depth=2
	global_load_dword v9, v7, s[14:15] offset:-528
	s_add_u32 s22, s14, 0xfffffdf0
	s_addc_u32 s23, s15, -1
	s_add_i32 s19, s17, 0xffffff7c
	global_store_dwordx2 v7, v[5:6], s[12:13] offset:1056
	s_add_u32 s12, s12, 0xfffffbe0
	s_addc_u32 s13, s13, -1
	s_cmpk_lt_i32 s19, 0x108
	s_mov_b32 s20, 0
	s_cselect_b32 s21, -1, 0
	s_waitcnt vmcnt(0)
	global_store_dword v7, v9, s[14:15]
	s_mov_b64 s[14:15], s[22:23]
.LBB46_63:                              ;   in Loop: Header=BB46_61 Depth=2
	s_andn2_b32 vcc_lo, exec_lo, s21
	s_cbranch_vccz .LBB46_65
; %bb.64:                               ;   in Loop: Header=BB46_61 Depth=2
	s_mov_b32 s17, s19
	s_branch .LBB46_61
.LBB46_65:                              ;   in Loop: Header=BB46_60 Depth=1
	s_andn2_b32 vcc_lo, exec_lo, s20
	s_mov_b32 s13, -1
                                        ; implicit-def: $sgpr12
	s_cbranch_vccz .LBB46_67
; %bb.66:                               ;   in Loop: Header=BB46_60 Depth=1
	s_add_i32 s12, s19, 0xffffff7c
	s_mov_b32 s13, 0
.LBB46_67:                              ;   in Loop: Header=BB46_60 Depth=1
	s_andn2_b32 vcc_lo, exec_lo, s13
	s_cbranch_vccnz .LBB46_59
; %bb.68:                               ;   in Loop: Header=BB46_60 Depth=1
	s_add_i32 s12, s17, 0xffffff7c
	s_branch .LBB46_59
.LBB46_69:
	s_cmp_lt_i32 s48, 58
	s_cbranch_scc1 .LBB46_81
; %bb.70:
	v_mov_b32_e32 v7, 0
	s_add_u32 s4, s40, 0xe4
	s_addc_u32 s5, s41, 0
	s_mov_b32 s8, 57
	s_movk_i32 s16, 0x72
	s_mov_b32 s9, 0
	s_mov_b64 s[10:11], s[36:37]
	s_branch .LBB46_72
.LBB46_71:                              ;   in Loop: Header=BB46_72 Depth=1
	s_ashr_i32 s13, s12, 31
	s_lshl_b64 s[14:15], s[12:13], 3
	s_add_u32 s14, s36, s14
	s_addc_u32 s15, s37, s15
	s_lshl_b64 s[12:13], s[12:13], 2
	s_add_u32 s12, s40, s12
	s_addc_u32 s13, s41, s13
	s_add_i32 s8, s8, 1
	s_add_i32 s16, s16, 1
	s_add_u32 s4, s4, 4
	s_addc_u32 s5, s5, 0
	s_add_u32 s10, s10, 8
	s_addc_u32 s11, s11, 0
	s_cmp_lg_u32 s8, s48
	global_store_dwordx2 v7, v[3:4], s[14:15]
	global_store_dword v7, v8, s[12:13]
	s_cbranch_scc0 .LBB46_81
.LBB46_72:                              ; =>This Loop Header: Depth=1
                                        ;     Child Loop BB46_73 Depth 2
	s_lshl_b64 s[12:13], s[8:9], 3
	s_mov_b32 s17, s16
	s_add_u32 s12, s36, s12
	s_addc_u32 s13, s37, s13
	s_lshl_b64 s[14:15], s[8:9], 2
	s_add_u32 s14, s40, s14
	s_addc_u32 s15, s41, s15
	s_clause 0x1
	global_load_dwordx2 v[3:4], v7, s[12:13]
	global_load_dword v8, v7, s[14:15]
	s_mov_b64 s[12:13], s[10:11]
	s_mov_b64 s[14:15], s[4:5]
	.p2align	6
.LBB46_73:                              ;   Parent Loop BB46_72 Depth=1
                                        ; =>  This Inner Loop Header: Depth=2
	global_load_dwordx2 v[5:6], v7, s[12:13]
	s_mov_b32 s20, -1
	s_mov_b32 s21, -1
                                        ; implicit-def: $sgpr19
	s_waitcnt vmcnt(0)
	v_cmp_nlt_f64_e32 vcc_lo, v[5:6], v[3:4]
	s_cbranch_vccnz .LBB46_75
; %bb.74:                               ;   in Loop: Header=BB46_73 Depth=2
	global_load_dword v9, v7, s[14:15] offset:-228
	s_add_u32 s22, s14, 0xffffff1c
	s_addc_u32 s23, s15, -1
	s_sub_i32 s19, s17, 57
	global_store_dwordx2 v7, v[5:6], s[12:13] offset:456
	s_add_u32 s12, s12, 0xfffffe38
	s_addc_u32 s13, s13, -1
	s_cmpk_lt_i32 s19, 0x72
	s_mov_b32 s20, 0
	s_cselect_b32 s21, -1, 0
	s_waitcnt vmcnt(0)
	global_store_dword v7, v9, s[14:15]
	s_mov_b64 s[14:15], s[22:23]
.LBB46_75:                              ;   in Loop: Header=BB46_73 Depth=2
	s_andn2_b32 vcc_lo, exec_lo, s21
	s_cbranch_vccz .LBB46_77
; %bb.76:                               ;   in Loop: Header=BB46_73 Depth=2
	s_mov_b32 s17, s19
	s_branch .LBB46_73
.LBB46_77:                              ;   in Loop: Header=BB46_72 Depth=1
	s_andn2_b32 vcc_lo, exec_lo, s20
	s_mov_b32 s13, -1
                                        ; implicit-def: $sgpr12
	s_cbranch_vccz .LBB46_79
; %bb.78:                               ;   in Loop: Header=BB46_72 Depth=1
	s_sub_i32 s12, s19, 57
	s_mov_b32 s13, 0
.LBB46_79:                              ;   in Loop: Header=BB46_72 Depth=1
	s_andn2_b32 vcc_lo, exec_lo, s13
	s_cbranch_vccnz .LBB46_71
; %bb.80:                               ;   in Loop: Header=BB46_72 Depth=1
	s_sub_i32 s12, s17, 57
	s_branch .LBB46_71
.LBB46_81:
	s_cmp_lt_i32 s48, 24
	s_cbranch_scc1 .LBB46_93
; %bb.82:
	v_mov_b32_e32 v7, 0
	s_add_u32 s4, s40, 0x5c
	s_addc_u32 s5, s41, 0
	s_mov_b32 s8, 23
	s_mov_b32 s16, 46
	s_mov_b32 s9, 0
	s_mov_b64 s[10:11], s[36:37]
	s_branch .LBB46_84
.LBB46_83:                              ;   in Loop: Header=BB46_84 Depth=1
	s_ashr_i32 s13, s12, 31
	s_lshl_b64 s[14:15], s[12:13], 3
	s_add_u32 s14, s36, s14
	s_addc_u32 s15, s37, s15
	s_lshl_b64 s[12:13], s[12:13], 2
	s_add_u32 s12, s40, s12
	s_addc_u32 s13, s41, s13
	s_add_i32 s8, s8, 1
	s_add_i32 s16, s16, 1
	s_add_u32 s4, s4, 4
	s_addc_u32 s5, s5, 0
	s_add_u32 s10, s10, 8
	s_addc_u32 s11, s11, 0
	s_cmp_lg_u32 s8, s48
	global_store_dwordx2 v7, v[3:4], s[14:15]
	global_store_dword v7, v8, s[12:13]
	s_cbranch_scc0 .LBB46_93
.LBB46_84:                              ; =>This Loop Header: Depth=1
                                        ;     Child Loop BB46_85 Depth 2
	s_lshl_b64 s[12:13], s[8:9], 3
	s_mov_b32 s17, s16
	s_add_u32 s12, s36, s12
	s_addc_u32 s13, s37, s13
	s_lshl_b64 s[14:15], s[8:9], 2
	s_add_u32 s14, s40, s14
	s_addc_u32 s15, s41, s15
	s_clause 0x1
	global_load_dwordx2 v[3:4], v7, s[12:13]
	global_load_dword v8, v7, s[14:15]
	s_mov_b64 s[12:13], s[10:11]
	s_mov_b64 s[14:15], s[4:5]
	.p2align	6
.LBB46_85:                              ;   Parent Loop BB46_84 Depth=1
                                        ; =>  This Inner Loop Header: Depth=2
	global_load_dwordx2 v[5:6], v7, s[12:13]
	s_mov_b32 s20, -1
	s_mov_b32 s21, -1
                                        ; implicit-def: $sgpr19
	s_waitcnt vmcnt(0)
	v_cmp_nlt_f64_e32 vcc_lo, v[5:6], v[3:4]
	s_cbranch_vccnz .LBB46_87
; %bb.86:                               ;   in Loop: Header=BB46_85 Depth=2
	global_load_dword v9, v7, s[14:15] offset:-92
	s_add_u32 s22, s14, 0xffffffa4
	s_addc_u32 s23, s15, -1
	s_sub_i32 s19, s17, 23
	global_store_dwordx2 v7, v[5:6], s[12:13] offset:184
	s_add_u32 s12, s12, 0xffffff48
	s_addc_u32 s13, s13, -1
	s_cmp_lt_i32 s19, 46
	s_mov_b32 s20, 0
	s_cselect_b32 s21, -1, 0
	s_waitcnt vmcnt(0)
	global_store_dword v7, v9, s[14:15]
	s_mov_b64 s[14:15], s[22:23]
.LBB46_87:                              ;   in Loop: Header=BB46_85 Depth=2
	s_andn2_b32 vcc_lo, exec_lo, s21
	s_cbranch_vccz .LBB46_89
; %bb.88:                               ;   in Loop: Header=BB46_85 Depth=2
	s_mov_b32 s17, s19
	s_branch .LBB46_85
.LBB46_89:                              ;   in Loop: Header=BB46_84 Depth=1
	s_andn2_b32 vcc_lo, exec_lo, s20
	s_mov_b32 s13, -1
                                        ; implicit-def: $sgpr12
	s_cbranch_vccz .LBB46_91
; %bb.90:                               ;   in Loop: Header=BB46_84 Depth=1
	s_sub_i32 s12, s19, 23
	s_mov_b32 s13, 0
.LBB46_91:                              ;   in Loop: Header=BB46_84 Depth=1
	s_andn2_b32 vcc_lo, exec_lo, s13
	s_cbranch_vccnz .LBB46_83
; %bb.92:                               ;   in Loop: Header=BB46_84 Depth=1
	s_sub_i32 s12, s17, 23
	s_branch .LBB46_83
.LBB46_93:
	s_cmp_lt_i32 s48, 11
	s_cbranch_scc1 .LBB46_105
; %bb.94:
	v_mov_b32_e32 v7, 0
	s_add_u32 s4, s40, 40
	s_addc_u32 s5, s41, 0
	s_mov_b32 s8, 10
	s_mov_b32 s16, 20
	;; [unrolled: 1-line block ×3, first 2 shown]
	s_mov_b64 s[10:11], s[36:37]
	s_branch .LBB46_96
.LBB46_95:                              ;   in Loop: Header=BB46_96 Depth=1
	s_ashr_i32 s13, s12, 31
	s_lshl_b64 s[14:15], s[12:13], 3
	s_add_u32 s14, s36, s14
	s_addc_u32 s15, s37, s15
	s_lshl_b64 s[12:13], s[12:13], 2
	s_add_u32 s12, s40, s12
	s_addc_u32 s13, s41, s13
	s_add_i32 s8, s8, 1
	s_add_i32 s16, s16, 1
	s_add_u32 s4, s4, 4
	s_addc_u32 s5, s5, 0
	s_add_u32 s10, s10, 8
	s_addc_u32 s11, s11, 0
	s_cmp_lg_u32 s8, s48
	global_store_dwordx2 v7, v[3:4], s[14:15]
	global_store_dword v7, v8, s[12:13]
	s_cbranch_scc0 .LBB46_105
.LBB46_96:                              ; =>This Loop Header: Depth=1
                                        ;     Child Loop BB46_97 Depth 2
	s_lshl_b64 s[12:13], s[8:9], 3
	s_mov_b32 s17, s16
	s_add_u32 s12, s36, s12
	s_addc_u32 s13, s37, s13
	s_lshl_b64 s[14:15], s[8:9], 2
	s_add_u32 s14, s40, s14
	s_addc_u32 s15, s41, s15
	s_clause 0x1
	global_load_dwordx2 v[3:4], v7, s[12:13]
	global_load_dword v8, v7, s[14:15]
	s_mov_b64 s[12:13], s[10:11]
	s_mov_b64 s[14:15], s[4:5]
	.p2align	6
.LBB46_97:                              ;   Parent Loop BB46_96 Depth=1
                                        ; =>  This Inner Loop Header: Depth=2
	global_load_dwordx2 v[5:6], v7, s[12:13]
	s_mov_b32 s20, -1
	s_mov_b32 s21, -1
                                        ; implicit-def: $sgpr19
	s_waitcnt vmcnt(0)
	v_cmp_nlt_f64_e32 vcc_lo, v[5:6], v[3:4]
	s_cbranch_vccnz .LBB46_99
; %bb.98:                               ;   in Loop: Header=BB46_97 Depth=2
	global_load_dword v9, v7, s[14:15] offset:-40
	s_add_u32 s22, s14, 0xffffffd8
	s_addc_u32 s23, s15, -1
	s_add_i32 s19, s17, -10
	global_store_dwordx2 v7, v[5:6], s[12:13] offset:80
	s_add_u32 s12, s12, 0xffffffb0
	s_addc_u32 s13, s13, -1
	s_cmp_lt_i32 s19, 20
	s_mov_b32 s20, 0
	s_cselect_b32 s21, -1, 0
	s_waitcnt vmcnt(0)
	global_store_dword v7, v9, s[14:15]
	s_mov_b64 s[14:15], s[22:23]
.LBB46_99:                              ;   in Loop: Header=BB46_97 Depth=2
	s_andn2_b32 vcc_lo, exec_lo, s21
	s_cbranch_vccz .LBB46_101
; %bb.100:                              ;   in Loop: Header=BB46_97 Depth=2
	s_mov_b32 s17, s19
	s_branch .LBB46_97
.LBB46_101:                             ;   in Loop: Header=BB46_96 Depth=1
	s_andn2_b32 vcc_lo, exec_lo, s20
	s_mov_b32 s13, -1
                                        ; implicit-def: $sgpr12
	s_cbranch_vccz .LBB46_103
; %bb.102:                              ;   in Loop: Header=BB46_96 Depth=1
	s_add_i32 s12, s19, -10
	s_mov_b32 s13, 0
.LBB46_103:                             ;   in Loop: Header=BB46_96 Depth=1
	s_andn2_b32 vcc_lo, exec_lo, s13
	s_cbranch_vccnz .LBB46_95
; %bb.104:                              ;   in Loop: Header=BB46_96 Depth=1
	s_add_i32 s12, s17, -10
	s_branch .LBB46_95
.LBB46_105:
	s_cmp_lt_i32 s48, 5
	s_cbranch_scc1 .LBB46_117
; %bb.106:
	s_add_u32 s4, s40, 16
	s_addc_u32 s5, s41, 0
	s_add_u32 s8, s52, s54
	v_mov_b32_e32 v7, 0
	s_addc_u32 s9, s53, s55
	s_add_u32 s8, s8, 32
	s_addc_u32 s9, s9, 0
	s_mov_b32 s10, 4
	s_mov_b32 s19, 8
	;; [unrolled: 1-line block ×3, first 2 shown]
	s_branch .LBB46_108
.LBB46_107:                             ;   in Loop: Header=BB46_108 Depth=1
	s_ashr_i32 s13, s12, 31
	s_lshl_b64 s[14:15], s[12:13], 3
	s_add_u32 s14, s36, s14
	s_addc_u32 s15, s37, s15
	s_lshl_b64 s[12:13], s[12:13], 2
	s_add_u32 s12, s40, s12
	s_addc_u32 s13, s41, s13
	s_add_i32 s10, s10, 1
	s_add_i32 s19, s19, 1
	s_add_u32 s4, s4, 4
	s_addc_u32 s5, s5, 0
	s_add_u32 s8, s8, 8
	s_addc_u32 s9, s9, 0
	s_cmp_lg_u32 s10, s48
	global_store_dwordx2 v7, v[3:4], s[14:15]
	global_store_dword v7, v8, s[12:13]
	s_cbranch_scc0 .LBB46_117
.LBB46_108:                             ; =>This Loop Header: Depth=1
                                        ;     Child Loop BB46_109 Depth 2
	s_lshl_b64 s[12:13], s[10:11], 3
	s_mov_b64 s[16:17], s[8:9]
	s_add_u32 s12, s36, s12
	s_addc_u32 s13, s37, s13
	s_lshl_b64 s[14:15], s[10:11], 2
	s_mov_b32 s20, s19
	s_add_u32 s14, s40, s14
	s_addc_u32 s15, s41, s15
	s_clause 0x1
	global_load_dwordx2 v[3:4], v7, s[12:13]
	global_load_dword v8, v7, s[14:15]
	s_mov_b64 s[12:13], s[4:5]
	.p2align	6
.LBB46_109:                             ;   Parent Loop BB46_108 Depth=1
                                        ; =>  This Inner Loop Header: Depth=2
	global_load_dwordx2 v[5:6], v7, s[16:17] offset:-32
	s_add_u32 s14, s16, 0xffffffe0
	s_addc_u32 s15, s17, -1
	s_mov_b32 s22, -1
	s_mov_b32 s23, -1
                                        ; implicit-def: $sgpr21
	s_waitcnt vmcnt(0)
	v_cmp_nlt_f64_e32 vcc_lo, v[5:6], v[3:4]
	s_cbranch_vccnz .LBB46_111
; %bb.110:                              ;   in Loop: Header=BB46_109 Depth=2
	global_load_dword v9, v7, s[12:13] offset:-16
	s_add_u32 s30, s12, -16
	s_addc_u32 s31, s13, -1
	s_add_i32 s21, s20, -4
	s_mov_b32 s22, 0
	s_cmp_lt_i32 s21, 8
	global_store_dwordx2 v7, v[5:6], s[16:17]
	s_cselect_b32 s23, -1, 0
	s_waitcnt vmcnt(0)
	global_store_dword v7, v9, s[12:13]
	s_mov_b64 s[12:13], s[30:31]
.LBB46_111:                             ;   in Loop: Header=BB46_109 Depth=2
	s_andn2_b32 vcc_lo, exec_lo, s23
	s_cbranch_vccz .LBB46_113
; %bb.112:                              ;   in Loop: Header=BB46_109 Depth=2
	s_mov_b64 s[16:17], s[14:15]
	s_mov_b32 s20, s21
	s_branch .LBB46_109
.LBB46_113:                             ;   in Loop: Header=BB46_108 Depth=1
	s_andn2_b32 vcc_lo, exec_lo, s22
	s_mov_b32 s13, -1
                                        ; implicit-def: $sgpr12
	s_cbranch_vccz .LBB46_115
; %bb.114:                              ;   in Loop: Header=BB46_108 Depth=1
	s_add_i32 s12, s21, -4
	s_mov_b32 s13, 0
.LBB46_115:                             ;   in Loop: Header=BB46_108 Depth=1
	s_andn2_b32 vcc_lo, exec_lo, s13
	s_cbranch_vccnz .LBB46_107
; %bb.116:                              ;   in Loop: Header=BB46_108 Depth=1
	s_add_i32 s12, s20, -4
	s_branch .LBB46_107
.LBB46_117:
	s_cmp_lt_i32 s48, 2
	s_mov_b32 s19, 2
	s_cbranch_scc1 .LBB46_126
; %bb.118:
	s_add_u32 s4, s40, 4
	s_addc_u32 s5, s41, 0
	s_add_u32 s8, s52, s54
	v_mov_b32_e32 v7, 0
	s_addc_u32 s9, s53, s55
	s_add_u32 s8, s8, 8
	s_addc_u32 s9, s9, 0
	s_mov_b32 s10, 1
	s_mov_b32 s11, 0
	s_branch .LBB46_120
.LBB46_119:                             ;   in Loop: Header=BB46_120 Depth=1
	s_ashr_i32 s13, s12, 31
	s_lshl_b64 s[14:15], s[12:13], 3
	s_add_u32 s14, s36, s14
	s_addc_u32 s15, s37, s15
	s_lshl_b64 s[12:13], s[12:13], 2
	s_add_u32 s12, s40, s12
	s_addc_u32 s13, s41, s13
	s_add_i32 s10, s10, 1
	s_add_i32 s19, s19, 1
	s_add_u32 s4, s4, 4
	s_addc_u32 s5, s5, 0
	s_add_u32 s8, s8, 8
	s_addc_u32 s9, s9, 0
	s_cmp_eq_u32 s10, s48
	global_store_dwordx2 v7, v[3:4], s[14:15]
	global_store_dword v7, v8, s[12:13]
	s_cbranch_scc1 .LBB46_126
.LBB46_120:                             ; =>This Loop Header: Depth=1
                                        ;     Child Loop BB46_122 Depth 2
	s_lshl_b64 s[12:13], s[10:11], 3
	s_mov_b32 s21, s19
	s_add_u32 s12, s36, s12
	s_addc_u32 s13, s37, s13
	s_lshl_b64 s[14:15], s[10:11], 2
	s_add_u32 s14, s40, s14
	s_addc_u32 s15, s41, s15
	s_clause 0x1
	global_load_dwordx2 v[3:4], v7, s[12:13]
	global_load_dword v8, v7, s[14:15]
	s_mov_b64 s[14:15], s[8:9]
	s_mov_b64 s[12:13], s[4:5]
	s_inst_prefetch 0x1
	s_branch .LBB46_122
	.p2align	6
.LBB46_121:                             ;   in Loop: Header=BB46_122 Depth=2
	s_andn2_b32 vcc_lo, exec_lo, s23
	s_mov_b64 s[14:15], s[16:17]
	s_cbranch_vccz .LBB46_124
.LBB46_122:                             ;   Parent Loop BB46_120 Depth=1
                                        ; =>  This Inner Loop Header: Depth=2
	global_load_dwordx2 v[5:6], v7, s[14:15] offset:-8
	s_add_u32 s16, s14, -8
	s_mov_b32 s20, s21
	s_addc_u32 s17, s15, -1
	s_mov_b32 s22, -1
	s_mov_b32 s23, -1
                                        ; implicit-def: $sgpr21
	s_waitcnt vmcnt(0)
	v_cmp_nlt_f64_e32 vcc_lo, v[5:6], v[3:4]
	s_cbranch_vccnz .LBB46_121
; %bb.123:                              ;   in Loop: Header=BB46_122 Depth=2
	global_load_dword v9, v7, s[12:13] offset:-4
	s_add_u32 s30, s12, -4
	s_addc_u32 s31, s13, -1
	s_add_i32 s21, s20, -1
	s_mov_b32 s22, 0
	s_cmp_lt_i32 s21, 2
	global_store_dwordx2 v7, v[5:6], s[14:15]
	s_cselect_b32 s23, -1, 0
	s_waitcnt vmcnt(0)
	global_store_dword v7, v9, s[12:13]
	s_mov_b64 s[12:13], s[30:31]
	s_branch .LBB46_121
.LBB46_124:                             ;   in Loop: Header=BB46_120 Depth=1
	s_inst_prefetch 0x2
	s_and_b32 vcc_lo, exec_lo, s22
	s_mov_b32 s12, 0
	s_cbranch_vccz .LBB46_119
; %bb.125:                              ;   in Loop: Header=BB46_120 Depth=1
	s_add_i32 s12, s20, -1
	s_branch .LBB46_119
.LBB46_126:
	s_or_b32 exec_lo, exec_lo, s18
	s_cmp_lt_i32 s48, 2
	s_mov_b32 s62, 0
	s_cselect_b32 s9, -1, 0
	s_waitcnt_vscnt null, 0x0
	s_and_b32 vcc_lo, exec_lo, s9
	s_barrier
	buffer_gl0_inv
	s_cbranch_vccnz .LBB46_134
; %bb.127:
	s_add_i32 s8, s48, -1
	s_mov_b32 s9, -1
	s_mov_b32 s4, 0
	s_mov_b32 s5, exec_lo
	v_cmpx_gt_u32_e64 s8, v40
	s_cbranch_execz .LBB46_136
; %bb.128:
	v_mov_b32_e32 v4, 0
	v_mov_b32_e32 v3, v40
	s_mov_b32 s9, 0
                                        ; implicit-def: $sgpr10
	s_inst_prefetch 0x1
	s_branch .LBB46_130
	.p2align	6
.LBB46_129:                             ;   in Loop: Header=BB46_130 Depth=1
	s_or_b32 exec_lo, exec_lo, s13
	s_xor_b32 s11, s12, -1
	s_and_b32 s4, exec_lo, s4
	s_or_b32 s9, s4, s9
	s_andn2_b32 s4, s10, exec_lo
	s_and_b32 s10, s11, exec_lo
	s_or_b32 s10, s4, s10
	s_andn2_b32 exec_lo, exec_lo, s9
	s_cbranch_execz .LBB46_135
.LBB46_130:                             ; =>This Inner Loop Header: Depth=1
	v_lshlrev_b64 v[5:6], 3, v[3:4]
	s_mov_b32 s12, exec_lo
	v_add_co_u32 v5, vcc_lo, s36, v5
	v_add_co_ci_u32_e64 v6, null, s37, v6, vcc_lo
	global_load_dwordx2 v[7:8], v[5:6], off
	s_waitcnt vmcnt(0)
	v_cmp_u_f64_e64 s11, v[7:8], v[7:8]
	v_cmpx_o_f64_e32 v[7:8], v[7:8]
	s_cbranch_execz .LBB46_132
; %bb.131:                              ;   in Loop: Header=BB46_130 Depth=1
	global_load_dwordx2 v[5:6], v[5:6], off offset:8
	s_andn2_b32 s11, s11, exec_lo
	s_waitcnt vmcnt(0)
	v_cmp_u_f64_e32 vcc_lo, v[5:6], v[5:6]
	v_cmp_ge_f64_e64 s4, v[7:8], v[5:6]
	s_or_b32 s4, vcc_lo, s4
	s_and_b32 s4, s4, exec_lo
	s_or_b32 s11, s11, s4
.LBB46_132:                             ;   in Loop: Header=BB46_130 Depth=1
	s_or_b32 exec_lo, exec_lo, s12
	s_mov_b32 s4, -1
	s_mov_b32 s12, -1
	s_and_saveexec_b32 s13, s11
	s_cbranch_execz .LBB46_129
; %bb.133:                              ;   in Loop: Header=BB46_130 Depth=1
	v_add_nc_u32_e32 v3, s46, v3
	s_xor_b32 s12, exec_lo, -1
	v_cmp_le_u32_e32 vcc_lo, s8, v3
	s_orn2_b32 s4, vcc_lo, exec_lo
	s_branch .LBB46_129
.LBB46_134:
	s_mov_b32 s4, 0
	s_branch .LBB46_137
.LBB46_135:
	s_inst_prefetch 0x2
	s_or_b32 exec_lo, exec_lo, s9
	s_mov_b32 s4, exec_lo
	s_orn2_b32 s9, s10, exec_lo
.LBB46_136:
	s_or_b32 exec_lo, exec_lo, s5
.LBB46_137:
	s_and_saveexec_b32 s5, s9
	s_cbranch_execz .LBB46_139
; %bb.138:
	s_mov_b32 s62, exec_lo
	s_barrier
	s_andn2_b32 s4, s4, exec_lo
	buffer_gl0_inv
.LBB46_139:
	s_or_b32 exec_lo, exec_lo, s5
	s_mov_b32 s56, 0
	s_and_saveexec_b32 s63, s4
	s_cbranch_execz .LBB46_141
; %bb.140:
	s_add_u32 s8, s6, 0x90
	s_addc_u32 s9, s7, 0
	s_getpc_b64 s[4:5]
	s_add_u32 s4, s4, __PRETTY_FUNCTION__._ZN9rocsolver6v33100L21shell_sort_descendingIdiEEvT0_PT_PS2_@rel32@lo+4
	s_addc_u32 s5, s5, __PRETTY_FUNCTION__._ZN9rocsolver6v33100L21shell_sort_descendingIdiEEvT0_PT_PS2_@rel32@hi+12
	v_mov_b32_e32 v42, v0
	v_mov_b32_e32 v0, s4
	;; [unrolled: 1-line block ×4, first 2 shown]
	s_getpc_b64 s[10:11]
	s_add_u32 s10, s10, __assert_fail@rel32@lo+4
	s_addc_u32 s11, s11, __assert_fail@rel32@hi+12
	s_mov_b64 s[56:57], s[6:7]
	v_mov_b32_e32 v44, v2
	s_swappc_b64 s[30:31], s[10:11]
	v_mov_b32_e32 v0, v42
	v_mov_b32_e32 v1, v43
	;; [unrolled: 1-line block ×3, first 2 shown]
	s_mov_b64 s[6:7], s[56:57]
	s_mov_b32 s56, exec_lo
.LBB46_141:
	s_or_b32 exec_lo, exec_lo, s63
.LBB46_142:
	s_and_saveexec_b32 s22, s62
	s_cbranch_execz .LBB46_166
; %bb.143:
	s_andn2_b32 vcc_lo, exec_lo, s60
	s_waitcnt_vscnt null, 0x0
	s_barrier
	buffer_gl0_inv
	s_cbranch_vccnz .LBB46_165
; %bb.144:
	v_lshlrev_b32_e32 v5, 4, v41
	s_cmp_gt_i32 s49, 0
	v_cmp_eq_u32_e64 s4, 0, v40
	s_cselect_b32 s23, -1, 0
	s_ashr_i32 s24, s47, 31
	s_cmp_gt_i32 s50, 0
	v_add_nc_u32_e32 v6, 0x8000, v5
	v_add_nc_u32_e32 v7, 0x4000, v5
	v_cmp_gt_u32_e64 s5, s49, v40
	v_cmp_gt_u32_e64 s8, s50, v40
	;; [unrolled: 1-line block ×3, first 2 shown]
	v_mov_b32_e32 v4, 0
	s_mov_b32 s11, 0
	s_cselect_b32 s31, -1, 0
	s_cmp_gt_i32 s51, 0
	s_mov_b32 s30, s47
	s_mov_b32 s33, s43
	s_cselect_b32 s57, -1, 0
	s_ashr_i32 s59, s61, 31
	s_mov_b32 s60, s61
	s_mov_b32 s10, s11
	s_branch .LBB46_146
.LBB46_145:                             ;   in Loop: Header=BB46_146 Depth=1
	s_add_i32 s10, s10, 1
	s_cmp_eq_u32 s10, s48
	s_cbranch_scc1 .LBB46_165
.LBB46_146:                             ; =>This Loop Header: Depth=1
                                        ;     Child Loop BB46_149 Depth 2
                                        ;       Child Loop BB46_154 Depth 3
                                        ;       Child Loop BB46_159 Depth 3
	;; [unrolled: 1-line block ×3, first 2 shown]
	s_lshl_b64 s[12:13], s[10:11], 2
	s_add_u32 s12, s40, s12
	s_addc_u32 s13, s41, s13
	global_load_dword v3, v4, s[12:13]
	s_waitcnt vmcnt(0)
	v_cmp_eq_u32_e32 vcc_lo, s10, v3
	v_readfirstlane_b32 s14, v3
	s_cbranch_vccz .LBB46_149
	s_branch .LBB46_145
.LBB46_147:                             ;   in Loop: Header=BB46_149 Depth=2
	s_inst_prefetch 0x2
	s_or_b32 exec_lo, exec_lo, s18
	s_waitcnt lgkmcnt(0)
	s_waitcnt_vscnt null, 0x0
	s_barrier
	buffer_gl0_inv
.LBB46_148:                             ;   in Loop: Header=BB46_149 Depth=2
	global_load_dword v3, v4, s[12:13]
	s_waitcnt vmcnt(0)
	v_cmp_ne_u32_e32 vcc_lo, s10, v3
	v_readfirstlane_b32 s14, v3
	s_cbranch_vccz .LBB46_145
.LBB46_149:                             ;   Parent Loop BB46_146 Depth=1
                                        ; =>  This Loop Header: Depth=2
                                        ;       Child Loop BB46_154 Depth 3
                                        ;       Child Loop BB46_159 Depth 3
	;; [unrolled: 1-line block ×3, first 2 shown]
	s_ashr_i32 s15, s14, 31
	s_lshl_b64 s[16:17], s[14:15], 2
	s_add_u32 s18, s40, s16
	s_addc_u32 s19, s41, s17
	global_load_dword v3, v4, s[18:19]
	s_waitcnt vmcnt(0)
	s_barrier
	buffer_gl0_inv
	v_readfirstlane_b32 s16, v3
	s_and_saveexec_b32 s17, s4
	s_cbranch_execz .LBB46_151
; %bb.150:                              ;   in Loop: Header=BB46_149 Depth=2
	v_mov_b32_e32 v3, s14
	v_mov_b32_e32 v8, s16
	global_store_dword v4, v3, s[18:19]
	global_store_dword v4, v8, s[12:13]
.LBB46_151:                             ;   in Loop: Header=BB46_149 Depth=2
	s_or_b32 exec_lo, exec_lo, s17
	s_andn2_b32 vcc_lo, exec_lo, s23
	s_waitcnt_vscnt null, 0x0
	s_barrier
	buffer_gl0_inv
	s_cbranch_vccnz .LBB46_156
; %bb.152:                              ;   in Loop: Header=BB46_149 Depth=2
	s_and_saveexec_b32 s62, s5
	s_cbranch_execz .LBB46_155
; %bb.153:                              ;   in Loop: Header=BB46_149 Depth=2
	v_mov_b32_e32 v3, v40
	s_ashr_i32 s17, s16, 31
	s_mov_b32 s63, 0
	s_lshl_b64 s[18:19], s[14:15], 4
	s_lshl_b64 s[20:21], s[16:17], 4
	s_inst_prefetch 0x1
	.p2align	6
.LBB46_154:                             ;   Parent Loop BB46_146 Depth=1
                                        ;     Parent Loop BB46_149 Depth=2
                                        ; =>    This Inner Loop Header: Depth=3
	v_mad_u64_u32 v[8:9], null, v3, s30, 0
	v_mad_u64_u32 v[9:10], null, v3, s24, v[9:10]
	v_add_nc_u32_e32 v3, s46, v3
	v_lshlrev_b64 v[8:9], 4, v[8:9]
	v_add_co_u32 v8, vcc_lo, s34, v8
	v_add_co_ci_u32_e64 v9, null, s35, v9, vcc_lo
	v_add_co_u32 v16, vcc_lo, v8, s18
	v_add_co_ci_u32_e64 v17, null, s19, v9, vcc_lo
	;; [unrolled: 2-line block ×3, first 2 shown]
	s_clause 0x1
	global_load_dwordx4 v[8:11], v[16:17], off
	global_load_dwordx4 v[12:15], v[18:19], off
	v_cmp_le_u32_e32 vcc_lo, s49, v3
	s_or_b32 s63, vcc_lo, s63
	s_waitcnt vmcnt(1)
	ds_write2_b64 v5, v[8:9], v[10:11] offset1:1
	s_waitcnt vmcnt(0)
	global_store_dwordx4 v[16:17], v[12:15], off
	global_store_dwordx4 v[18:19], v[8:11], off
	s_andn2_b32 exec_lo, exec_lo, s63
	s_cbranch_execnz .LBB46_154
.LBB46_155:                             ;   in Loop: Header=BB46_149 Depth=2
	s_inst_prefetch 0x2
	s_or_b32 exec_lo, exec_lo, s62
	s_waitcnt lgkmcnt(0)
	s_waitcnt_vscnt null, 0x0
	s_barrier
	buffer_gl0_inv
.LBB46_156:                             ;   in Loop: Header=BB46_149 Depth=2
	s_andn2_b32 vcc_lo, exec_lo, s31
	s_cbranch_vccnz .LBB46_161
; %bb.157:                              ;   in Loop: Header=BB46_149 Depth=2
	s_and_saveexec_b32 s17, s8
	s_cbranch_execz .LBB46_160
; %bb.158:                              ;   in Loop: Header=BB46_149 Depth=2
	s_mul_hi_i32 s19, s14, s33
	s_mul_i32 s18, s14, s33
	s_mul_hi_i32 s21, s16, s33
	s_lshl_b64 s[18:19], s[18:19], 4
	s_mul_i32 s20, s16, s33
	s_add_u32 s18, s28, s18
	s_addc_u32 s19, s29, s19
	s_lshl_b64 s[20:21], s[20:21], 4
	v_mov_b32_e32 v3, v40
	s_add_u32 s20, s28, s20
	s_addc_u32 s21, s29, s21
	s_mov_b32 s62, 0
	.p2align	6
.LBB46_159:                             ;   Parent Loop BB46_146 Depth=1
                                        ;     Parent Loop BB46_149 Depth=2
                                        ; =>    This Inner Loop Header: Depth=3
	v_lshlrev_b64 v[8:9], 4, v[3:4]
	v_add_nc_u32_e32 v3, s46, v3
	v_add_co_u32 v16, vcc_lo, s18, v8
	v_add_co_ci_u32_e64 v17, null, s19, v9, vcc_lo
	v_add_co_u32 v18, vcc_lo, s20, v8
	v_add_co_ci_u32_e64 v19, null, s21, v9, vcc_lo
	s_clause 0x1
	global_load_dwordx4 v[8:11], v[16:17], off
	global_load_dwordx4 v[12:15], v[18:19], off
	v_cmp_le_u32_e32 vcc_lo, s50, v3
	s_or_b32 s62, vcc_lo, s62
	s_waitcnt vmcnt(1)
	ds_write2_b64 v7, v[8:9], v[10:11] offset1:1
	s_waitcnt vmcnt(0)
	global_store_dwordx4 v[16:17], v[12:15], off
	global_store_dwordx4 v[18:19], v[8:11], off
	s_andn2_b32 exec_lo, exec_lo, s62
	s_cbranch_execnz .LBB46_159
.LBB46_160:                             ;   in Loop: Header=BB46_149 Depth=2
	s_or_b32 exec_lo, exec_lo, s17
	s_waitcnt lgkmcnt(0)
	s_waitcnt_vscnt null, 0x0
	s_barrier
	buffer_gl0_inv
.LBB46_161:                             ;   in Loop: Header=BB46_149 Depth=2
	s_andn2_b32 vcc_lo, exec_lo, s57
	s_cbranch_vccnz .LBB46_148
; %bb.162:                              ;   in Loop: Header=BB46_149 Depth=2
	s_and_saveexec_b32 s18, s9
	s_cbranch_execz .LBB46_147
; %bb.163:                              ;   in Loop: Header=BB46_149 Depth=2
	v_mov_b32_e32 v3, v40
	s_ashr_i32 s17, s16, 31
	s_mov_b32 s19, 0
	s_lshl_b64 s[14:15], s[14:15], 4
	s_lshl_b64 s[16:17], s[16:17], 4
	s_inst_prefetch 0x1
	.p2align	6
.LBB46_164:                             ;   Parent Loop BB46_146 Depth=1
                                        ;     Parent Loop BB46_149 Depth=2
                                        ; =>    This Inner Loop Header: Depth=3
	v_mad_u64_u32 v[8:9], null, v3, s60, 0
	v_mad_u64_u32 v[9:10], null, v3, s59, v[9:10]
	v_add_nc_u32_e32 v3, s46, v3
	v_lshlrev_b64 v[8:9], 4, v[8:9]
	v_add_co_u32 v8, vcc_lo, s44, v8
	v_add_co_ci_u32_e64 v9, null, s45, v9, vcc_lo
	v_add_co_u32 v16, vcc_lo, v8, s14
	v_add_co_ci_u32_e64 v17, null, s15, v9, vcc_lo
	;; [unrolled: 2-line block ×3, first 2 shown]
	s_clause 0x1
	global_load_dwordx4 v[8:11], v[16:17], off
	global_load_dwordx4 v[12:15], v[18:19], off
	v_cmp_le_u32_e32 vcc_lo, s51, v3
	s_or_b32 s19, vcc_lo, s19
	s_waitcnt vmcnt(1)
	ds_write2_b64 v6, v[8:9], v[10:11] offset1:1
	s_waitcnt vmcnt(0)
	global_store_dwordx4 v[16:17], v[12:15], off
	global_store_dwordx4 v[18:19], v[8:11], off
	s_andn2_b32 exec_lo, exec_lo, s19
	s_cbranch_execnz .LBB46_164
	s_branch .LBB46_147
.LBB46_165:
	s_mov_b32 s59, exec_lo
.LBB46_166:
	s_or_b32 exec_lo, exec_lo, s22
	s_branch .LBB46_278
.LBB46_167:
	s_and_b32 vcc_lo, exec_lo, s58
	s_mov_b32 s59, -1
	s_cbranch_vccz .LBB46_278
; %bb.168:
	v_or3_b32 v0, v1, v2, v0
	s_mov_b32 s14, exec_lo
	s_waitcnt_vscnt null, 0x0
	s_barrier
	buffer_gl0_inv
	s_barrier
	buffer_gl0_inv
	v_cmpx_eq_u32_e32 0, v0
	s_cbranch_execz .LBB46_262
; %bb.169:
	s_cmpk_lt_u32 s48, 0x2be
	s_cbranch_scc1 .LBB46_181
; %bb.170:
	v_mov_b32_e32 v4, 0
	v_mov_b32_e32 v5, 0x1000
	s_movk_i32 s4, 0x2bd
	s_movk_i32 s12, 0x57a
	s_mov_b32 s5, 0
	s_mov_b64 s[8:9], s[36:37]
	s_branch .LBB46_172
.LBB46_171:                             ;   in Loop: Header=BB46_172 Depth=1
	s_ashr_i32 s11, s10, 31
	s_lshl_b64 s[10:11], s[10:11], 3
	s_add_u32 s10, s36, s10
	s_addc_u32 s11, s37, s11
	s_add_i32 s4, s4, 1
	s_add_i32 s12, s12, 1
	s_add_u32 s8, s8, 8
	s_addc_u32 s9, s9, 0
	s_cmp_eq_u32 s4, s48
	global_store_dwordx2 v4, v[0:1], s[10:11]
	s_cbranch_scc1 .LBB46_181
.LBB46_172:                             ; =>This Loop Header: Depth=1
                                        ;     Child Loop BB46_173 Depth 2
	s_lshl_b64 s[10:11], s[4:5], 3
	s_mov_b32 s13, s12
	s_add_u32 s10, s36, s10
	s_addc_u32 s11, s37, s11
	global_load_dwordx2 v[0:1], v4, s[10:11]
	s_mov_b64 s[10:11], s[8:9]
	.p2align	6
.LBB46_173:                             ;   Parent Loop BB46_172 Depth=1
                                        ; =>  This Inner Loop Header: Depth=2
	global_load_dwordx2 v[2:3], v4, s[10:11]
	s_mov_b32 s16, -1
	s_mov_b32 s17, -1
                                        ; implicit-def: $sgpr15
	s_waitcnt vmcnt(0)
	v_cmp_nlt_f64_e32 vcc_lo, v[2:3], v[0:1]
	s_cbranch_vccnz .LBB46_175
; %bb.174:                              ;   in Loop: Header=BB46_173 Depth=2
	s_add_i32 s15, s13, 0xfffffd43
	global_store_dwordx2 v5, v[2:3], s[10:11] offset:1512
	s_add_u32 s10, s10, 0xffffea18
	s_addc_u32 s11, s11, -1
	s_cmpk_lt_i32 s15, 0x57a
	s_mov_b32 s16, 0
	s_cselect_b32 s17, -1, 0
.LBB46_175:                             ;   in Loop: Header=BB46_173 Depth=2
	s_andn2_b32 vcc_lo, exec_lo, s17
	s_cbranch_vccz .LBB46_177
; %bb.176:                              ;   in Loop: Header=BB46_173 Depth=2
	s_mov_b32 s13, s15
	s_branch .LBB46_173
.LBB46_177:                             ;   in Loop: Header=BB46_172 Depth=1
	s_andn2_b32 vcc_lo, exec_lo, s16
	s_mov_b32 s11, -1
                                        ; implicit-def: $sgpr10
	s_cbranch_vccz .LBB46_179
; %bb.178:                              ;   in Loop: Header=BB46_172 Depth=1
	s_add_i32 s10, s15, 0xfffffd43
	s_mov_b32 s11, 0
.LBB46_179:                             ;   in Loop: Header=BB46_172 Depth=1
	s_andn2_b32 vcc_lo, exec_lo, s11
	s_cbranch_vccnz .LBB46_171
; %bb.180:                              ;   in Loop: Header=BB46_172 Depth=1
	s_add_i32 s10, s13, 0xfffffd43
	s_branch .LBB46_171
.LBB46_181:
	s_cmpk_lt_i32 s48, 0x12e
	s_cbranch_scc1 .LBB46_193
; %bb.182:
	v_mov_b32_e32 v4, 0
	v_mov_b32_e32 v5, 0x800
	s_movk_i32 s4, 0x12d
	s_movk_i32 s12, 0x25a
	s_mov_b32 s5, 0
	s_mov_b64 s[8:9], s[36:37]
	s_branch .LBB46_184
.LBB46_183:                             ;   in Loop: Header=BB46_184 Depth=1
	s_ashr_i32 s11, s10, 31
	s_lshl_b64 s[10:11], s[10:11], 3
	s_add_u32 s10, s36, s10
	s_addc_u32 s11, s37, s11
	s_add_i32 s4, s4, 1
	s_add_i32 s12, s12, 1
	s_add_u32 s8, s8, 8
	s_addc_u32 s9, s9, 0
	s_cmp_lg_u32 s4, s48
	global_store_dwordx2 v4, v[0:1], s[10:11]
	s_cbranch_scc0 .LBB46_193
.LBB46_184:                             ; =>This Loop Header: Depth=1
                                        ;     Child Loop BB46_185 Depth 2
	s_lshl_b64 s[10:11], s[4:5], 3
	s_mov_b32 s13, s12
	s_add_u32 s10, s36, s10
	s_addc_u32 s11, s37, s11
	global_load_dwordx2 v[0:1], v4, s[10:11]
	s_mov_b64 s[10:11], s[8:9]
	.p2align	6
.LBB46_185:                             ;   Parent Loop BB46_184 Depth=1
                                        ; =>  This Inner Loop Header: Depth=2
	global_load_dwordx2 v[2:3], v4, s[10:11]
	s_mov_b32 s16, -1
	s_mov_b32 s17, -1
                                        ; implicit-def: $sgpr15
	s_waitcnt vmcnt(0)
	v_cmp_nlt_f64_e32 vcc_lo, v[2:3], v[0:1]
	s_cbranch_vccnz .LBB46_187
; %bb.186:                              ;   in Loop: Header=BB46_185 Depth=2
	s_add_i32 s15, s13, 0xfffffed3
	global_store_dwordx2 v5, v[2:3], s[10:11] offset:360
	s_add_u32 s10, s10, 0xfffff698
	s_addc_u32 s11, s11, -1
	s_cmpk_lt_i32 s15, 0x25a
	s_mov_b32 s16, 0
	s_cselect_b32 s17, -1, 0
.LBB46_187:                             ;   in Loop: Header=BB46_185 Depth=2
	s_andn2_b32 vcc_lo, exec_lo, s17
	s_cbranch_vccz .LBB46_189
; %bb.188:                              ;   in Loop: Header=BB46_185 Depth=2
	s_mov_b32 s13, s15
	s_branch .LBB46_185
.LBB46_189:                             ;   in Loop: Header=BB46_184 Depth=1
	s_andn2_b32 vcc_lo, exec_lo, s16
	s_mov_b32 s11, -1
                                        ; implicit-def: $sgpr10
	s_cbranch_vccz .LBB46_191
; %bb.190:                              ;   in Loop: Header=BB46_184 Depth=1
	s_add_i32 s10, s15, 0xfffffed3
	s_mov_b32 s11, 0
.LBB46_191:                             ;   in Loop: Header=BB46_184 Depth=1
	s_andn2_b32 vcc_lo, exec_lo, s11
	s_cbranch_vccnz .LBB46_183
; %bb.192:                              ;   in Loop: Header=BB46_184 Depth=1
	s_add_i32 s10, s13, 0xfffffed3
	s_branch .LBB46_183
.LBB46_193:
	s_cmpk_lt_i32 s48, 0x85
	s_cbranch_scc1 .LBB46_205
; %bb.194:
	s_add_u32 s4, s52, s54
	v_mov_b32_e32 v4, 0
	s_addc_u32 s5, s53, s55
	s_add_u32 s4, s4, 0x420
	s_addc_u32 s5, s5, 0
	s_movk_i32 s8, 0x84
	s_movk_i32 s15, 0x108
	s_mov_b32 s9, 0
	s_branch .LBB46_196
.LBB46_195:                             ;   in Loop: Header=BB46_196 Depth=1
	s_ashr_i32 s11, s10, 31
	s_lshl_b64 s[10:11], s[10:11], 3
	s_add_u32 s10, s36, s10
	s_addc_u32 s11, s37, s11
	s_add_i32 s8, s8, 1
	s_add_i32 s15, s15, 1
	s_add_u32 s4, s4, 8
	s_addc_u32 s5, s5, 0
	s_cmp_lg_u32 s8, s48
	global_store_dwordx2 v4, v[0:1], s[10:11]
	s_cbranch_scc0 .LBB46_205
.LBB46_196:                             ; =>This Loop Header: Depth=1
                                        ;     Child Loop BB46_197 Depth 2
	s_lshl_b64 s[10:11], s[8:9], 3
	s_mov_b64 s[12:13], s[4:5]
	s_add_u32 s10, s36, s10
	s_addc_u32 s11, s37, s11
	s_mov_b32 s16, s15
	global_load_dwordx2 v[0:1], v4, s[10:11]
	.p2align	6
.LBB46_197:                             ;   Parent Loop BB46_196 Depth=1
                                        ; =>  This Inner Loop Header: Depth=2
	global_load_dwordx2 v[2:3], v4, s[12:13] offset:-1056
	s_add_u32 s10, s12, 0xfffffbe0
	s_addc_u32 s11, s13, -1
	s_mov_b32 s18, -1
	s_mov_b32 s19, -1
                                        ; implicit-def: $sgpr17
	s_waitcnt vmcnt(0)
	v_cmp_nlt_f64_e32 vcc_lo, v[2:3], v[0:1]
	s_cbranch_vccnz .LBB46_199
; %bb.198:                              ;   in Loop: Header=BB46_197 Depth=2
	s_add_i32 s17, s16, 0xffffff7c
	s_mov_b32 s18, 0
	s_cmpk_lt_i32 s17, 0x108
	global_store_dwordx2 v4, v[2:3], s[12:13]
	s_cselect_b32 s19, -1, 0
.LBB46_199:                             ;   in Loop: Header=BB46_197 Depth=2
	s_andn2_b32 vcc_lo, exec_lo, s19
	s_cbranch_vccz .LBB46_201
; %bb.200:                              ;   in Loop: Header=BB46_197 Depth=2
	s_mov_b64 s[12:13], s[10:11]
	s_mov_b32 s16, s17
	s_branch .LBB46_197
.LBB46_201:                             ;   in Loop: Header=BB46_196 Depth=1
	s_andn2_b32 vcc_lo, exec_lo, s18
	s_mov_b32 s11, -1
                                        ; implicit-def: $sgpr10
	s_cbranch_vccz .LBB46_203
; %bb.202:                              ;   in Loop: Header=BB46_196 Depth=1
	s_add_i32 s10, s17, 0xffffff7c
	s_mov_b32 s11, 0
.LBB46_203:                             ;   in Loop: Header=BB46_196 Depth=1
	s_andn2_b32 vcc_lo, exec_lo, s11
	s_cbranch_vccnz .LBB46_195
; %bb.204:                              ;   in Loop: Header=BB46_196 Depth=1
	s_add_i32 s10, s16, 0xffffff7c
	s_branch .LBB46_195
.LBB46_205:
	s_cmp_lt_i32 s48, 58
	s_cbranch_scc1 .LBB46_217
; %bb.206:
	s_add_u32 s4, s52, s54
	v_mov_b32_e32 v4, 0
	s_addc_u32 s5, s53, s55
	s_add_u32 s4, s4, 0x1c8
	s_addc_u32 s5, s5, 0
	s_mov_b32 s8, 57
	s_movk_i32 s15, 0x72
	s_mov_b32 s9, 0
	s_branch .LBB46_208
.LBB46_207:                             ;   in Loop: Header=BB46_208 Depth=1
	s_ashr_i32 s11, s10, 31
	s_lshl_b64 s[10:11], s[10:11], 3
	s_add_u32 s10, s36, s10
	s_addc_u32 s11, s37, s11
	s_add_i32 s8, s8, 1
	s_add_i32 s15, s15, 1
	s_add_u32 s4, s4, 8
	s_addc_u32 s5, s5, 0
	s_cmp_lg_u32 s8, s48
	global_store_dwordx2 v4, v[0:1], s[10:11]
	s_cbranch_scc0 .LBB46_217
.LBB46_208:                             ; =>This Loop Header: Depth=1
                                        ;     Child Loop BB46_209 Depth 2
	s_lshl_b64 s[10:11], s[8:9], 3
	s_mov_b64 s[12:13], s[4:5]
	s_add_u32 s10, s36, s10
	s_addc_u32 s11, s37, s11
	s_mov_b32 s16, s15
	global_load_dwordx2 v[0:1], v4, s[10:11]
	.p2align	6
.LBB46_209:                             ;   Parent Loop BB46_208 Depth=1
                                        ; =>  This Inner Loop Header: Depth=2
	global_load_dwordx2 v[2:3], v4, s[12:13] offset:-456
	s_add_u32 s10, s12, 0xfffffe38
	s_addc_u32 s11, s13, -1
	s_mov_b32 s18, -1
	s_mov_b32 s19, -1
                                        ; implicit-def: $sgpr17
	s_waitcnt vmcnt(0)
	v_cmp_nlt_f64_e32 vcc_lo, v[2:3], v[0:1]
	s_cbranch_vccnz .LBB46_211
; %bb.210:                              ;   in Loop: Header=BB46_209 Depth=2
	s_sub_i32 s17, s16, 57
	s_mov_b32 s18, 0
	s_cmpk_lt_i32 s17, 0x72
	global_store_dwordx2 v4, v[2:3], s[12:13]
	s_cselect_b32 s19, -1, 0
.LBB46_211:                             ;   in Loop: Header=BB46_209 Depth=2
	s_andn2_b32 vcc_lo, exec_lo, s19
	s_cbranch_vccz .LBB46_213
; %bb.212:                              ;   in Loop: Header=BB46_209 Depth=2
	s_mov_b64 s[12:13], s[10:11]
	s_mov_b32 s16, s17
	s_branch .LBB46_209
.LBB46_213:                             ;   in Loop: Header=BB46_208 Depth=1
	s_andn2_b32 vcc_lo, exec_lo, s18
	s_mov_b32 s11, -1
                                        ; implicit-def: $sgpr10
	s_cbranch_vccz .LBB46_215
; %bb.214:                              ;   in Loop: Header=BB46_208 Depth=1
	s_sub_i32 s10, s17, 57
	s_mov_b32 s11, 0
.LBB46_215:                             ;   in Loop: Header=BB46_208 Depth=1
	s_andn2_b32 vcc_lo, exec_lo, s11
	s_cbranch_vccnz .LBB46_207
; %bb.216:                              ;   in Loop: Header=BB46_208 Depth=1
	s_sub_i32 s10, s16, 57
	s_branch .LBB46_207
.LBB46_217:
	s_cmp_lt_i32 s48, 24
	s_cbranch_scc1 .LBB46_229
; %bb.218:
	s_add_u32 s4, s52, s54
	v_mov_b32_e32 v4, 0
	s_addc_u32 s5, s53, s55
	s_add_u32 s4, s4, 0xb8
	s_addc_u32 s5, s5, 0
	s_mov_b32 s8, 23
	s_mov_b32 s15, 46
	;; [unrolled: 1-line block ×3, first 2 shown]
	s_branch .LBB46_220
.LBB46_219:                             ;   in Loop: Header=BB46_220 Depth=1
	s_ashr_i32 s11, s10, 31
	s_lshl_b64 s[10:11], s[10:11], 3
	s_add_u32 s10, s36, s10
	s_addc_u32 s11, s37, s11
	s_add_i32 s8, s8, 1
	s_add_i32 s15, s15, 1
	s_add_u32 s4, s4, 8
	s_addc_u32 s5, s5, 0
	s_cmp_lg_u32 s8, s48
	global_store_dwordx2 v4, v[0:1], s[10:11]
	s_cbranch_scc0 .LBB46_229
.LBB46_220:                             ; =>This Loop Header: Depth=1
                                        ;     Child Loop BB46_221 Depth 2
	s_lshl_b64 s[10:11], s[8:9], 3
	s_mov_b64 s[12:13], s[4:5]
	s_add_u32 s10, s36, s10
	s_addc_u32 s11, s37, s11
	s_mov_b32 s16, s15
	global_load_dwordx2 v[0:1], v4, s[10:11]
	.p2align	6
.LBB46_221:                             ;   Parent Loop BB46_220 Depth=1
                                        ; =>  This Inner Loop Header: Depth=2
	global_load_dwordx2 v[2:3], v4, s[12:13] offset:-184
	s_add_u32 s10, s12, 0xffffff48
	s_addc_u32 s11, s13, -1
	s_mov_b32 s18, -1
	s_mov_b32 s19, -1
                                        ; implicit-def: $sgpr17
	s_waitcnt vmcnt(0)
	v_cmp_nlt_f64_e32 vcc_lo, v[2:3], v[0:1]
	s_cbranch_vccnz .LBB46_223
; %bb.222:                              ;   in Loop: Header=BB46_221 Depth=2
	s_sub_i32 s17, s16, 23
	s_mov_b32 s18, 0
	s_cmp_lt_i32 s17, 46
	global_store_dwordx2 v4, v[2:3], s[12:13]
	s_cselect_b32 s19, -1, 0
.LBB46_223:                             ;   in Loop: Header=BB46_221 Depth=2
	s_andn2_b32 vcc_lo, exec_lo, s19
	s_cbranch_vccz .LBB46_225
; %bb.224:                              ;   in Loop: Header=BB46_221 Depth=2
	s_mov_b64 s[12:13], s[10:11]
	s_mov_b32 s16, s17
	s_branch .LBB46_221
.LBB46_225:                             ;   in Loop: Header=BB46_220 Depth=1
	s_andn2_b32 vcc_lo, exec_lo, s18
	s_mov_b32 s11, -1
                                        ; implicit-def: $sgpr10
	s_cbranch_vccz .LBB46_227
; %bb.226:                              ;   in Loop: Header=BB46_220 Depth=1
	s_sub_i32 s10, s17, 23
	s_mov_b32 s11, 0
.LBB46_227:                             ;   in Loop: Header=BB46_220 Depth=1
	s_andn2_b32 vcc_lo, exec_lo, s11
	s_cbranch_vccnz .LBB46_219
; %bb.228:                              ;   in Loop: Header=BB46_220 Depth=1
	s_sub_i32 s10, s16, 23
	s_branch .LBB46_219
.LBB46_229:
	s_cmp_lt_i32 s48, 11
	s_cbranch_scc1 .LBB46_241
; %bb.230:
	s_add_u32 s4, s52, s54
	v_mov_b32_e32 v4, 0
	s_addc_u32 s5, s53, s55
	s_add_u32 s4, s4, 0x50
	s_addc_u32 s5, s5, 0
	s_mov_b32 s8, 10
	s_mov_b32 s15, 20
	s_mov_b32 s9, 0
	s_branch .LBB46_232
.LBB46_231:                             ;   in Loop: Header=BB46_232 Depth=1
	s_ashr_i32 s11, s10, 31
	s_lshl_b64 s[10:11], s[10:11], 3
	s_add_u32 s10, s36, s10
	s_addc_u32 s11, s37, s11
	s_add_i32 s8, s8, 1
	s_add_i32 s15, s15, 1
	s_add_u32 s4, s4, 8
	s_addc_u32 s5, s5, 0
	s_cmp_lg_u32 s8, s48
	global_store_dwordx2 v4, v[0:1], s[10:11]
	s_cbranch_scc0 .LBB46_241
.LBB46_232:                             ; =>This Loop Header: Depth=1
                                        ;     Child Loop BB46_233 Depth 2
	s_lshl_b64 s[10:11], s[8:9], 3
	s_mov_b64 s[12:13], s[4:5]
	s_add_u32 s10, s36, s10
	s_addc_u32 s11, s37, s11
	s_mov_b32 s16, s15
	global_load_dwordx2 v[0:1], v4, s[10:11]
	.p2align	6
.LBB46_233:                             ;   Parent Loop BB46_232 Depth=1
                                        ; =>  This Inner Loop Header: Depth=2
	global_load_dwordx2 v[2:3], v4, s[12:13] offset:-80
	s_add_u32 s10, s12, 0xffffffb0
	s_addc_u32 s11, s13, -1
	s_mov_b32 s18, -1
	s_mov_b32 s19, -1
                                        ; implicit-def: $sgpr17
	s_waitcnt vmcnt(0)
	v_cmp_nlt_f64_e32 vcc_lo, v[2:3], v[0:1]
	s_cbranch_vccnz .LBB46_235
; %bb.234:                              ;   in Loop: Header=BB46_233 Depth=2
	s_add_i32 s17, s16, -10
	s_mov_b32 s18, 0
	s_cmp_lt_i32 s17, 20
	global_store_dwordx2 v4, v[2:3], s[12:13]
	s_cselect_b32 s19, -1, 0
.LBB46_235:                             ;   in Loop: Header=BB46_233 Depth=2
	s_andn2_b32 vcc_lo, exec_lo, s19
	s_cbranch_vccz .LBB46_237
; %bb.236:                              ;   in Loop: Header=BB46_233 Depth=2
	s_mov_b64 s[12:13], s[10:11]
	s_mov_b32 s16, s17
	s_branch .LBB46_233
.LBB46_237:                             ;   in Loop: Header=BB46_232 Depth=1
	s_andn2_b32 vcc_lo, exec_lo, s18
	s_mov_b32 s11, -1
                                        ; implicit-def: $sgpr10
	s_cbranch_vccz .LBB46_239
; %bb.238:                              ;   in Loop: Header=BB46_232 Depth=1
	s_add_i32 s10, s17, -10
	s_mov_b32 s11, 0
.LBB46_239:                             ;   in Loop: Header=BB46_232 Depth=1
	s_andn2_b32 vcc_lo, exec_lo, s11
	s_cbranch_vccnz .LBB46_231
; %bb.240:                              ;   in Loop: Header=BB46_232 Depth=1
	s_add_i32 s10, s16, -10
	s_branch .LBB46_231
.LBB46_241:
	s_cmp_lt_i32 s48, 5
	s_cbranch_scc1 .LBB46_253
; %bb.242:
	s_add_u32 s4, s52, s54
	v_mov_b32_e32 v4, 0
	s_addc_u32 s5, s53, s55
	s_add_u32 s4, s4, 32
	s_addc_u32 s5, s5, 0
	s_mov_b32 s8, 4
	s_mov_b32 s15, 8
	;; [unrolled: 1-line block ×3, first 2 shown]
	s_branch .LBB46_244
.LBB46_243:                             ;   in Loop: Header=BB46_244 Depth=1
	s_ashr_i32 s11, s10, 31
	s_lshl_b64 s[10:11], s[10:11], 3
	s_add_u32 s10, s36, s10
	s_addc_u32 s11, s37, s11
	s_add_i32 s8, s8, 1
	s_add_i32 s15, s15, 1
	s_add_u32 s4, s4, 8
	s_addc_u32 s5, s5, 0
	s_cmp_lg_u32 s8, s48
	global_store_dwordx2 v4, v[0:1], s[10:11]
	s_cbranch_scc0 .LBB46_253
.LBB46_244:                             ; =>This Loop Header: Depth=1
                                        ;     Child Loop BB46_245 Depth 2
	s_lshl_b64 s[10:11], s[8:9], 3
	s_mov_b64 s[12:13], s[4:5]
	s_add_u32 s10, s36, s10
	s_addc_u32 s11, s37, s11
	s_mov_b32 s16, s15
	global_load_dwordx2 v[0:1], v4, s[10:11]
	.p2align	6
.LBB46_245:                             ;   Parent Loop BB46_244 Depth=1
                                        ; =>  This Inner Loop Header: Depth=2
	global_load_dwordx2 v[2:3], v4, s[12:13] offset:-32
	s_add_u32 s10, s12, 0xffffffe0
	s_addc_u32 s11, s13, -1
	s_mov_b32 s18, -1
	s_mov_b32 s19, -1
                                        ; implicit-def: $sgpr17
	s_waitcnt vmcnt(0)
	v_cmp_nlt_f64_e32 vcc_lo, v[2:3], v[0:1]
	s_cbranch_vccnz .LBB46_247
; %bb.246:                              ;   in Loop: Header=BB46_245 Depth=2
	s_add_i32 s17, s16, -4
	s_mov_b32 s18, 0
	s_cmp_lt_i32 s17, 8
	global_store_dwordx2 v4, v[2:3], s[12:13]
	s_cselect_b32 s19, -1, 0
.LBB46_247:                             ;   in Loop: Header=BB46_245 Depth=2
	s_andn2_b32 vcc_lo, exec_lo, s19
	s_cbranch_vccz .LBB46_249
; %bb.248:                              ;   in Loop: Header=BB46_245 Depth=2
	s_mov_b64 s[12:13], s[10:11]
	s_mov_b32 s16, s17
	s_branch .LBB46_245
.LBB46_249:                             ;   in Loop: Header=BB46_244 Depth=1
	s_andn2_b32 vcc_lo, exec_lo, s18
	s_mov_b32 s11, -1
                                        ; implicit-def: $sgpr10
	s_cbranch_vccz .LBB46_251
; %bb.250:                              ;   in Loop: Header=BB46_244 Depth=1
	s_add_i32 s10, s17, -4
	s_mov_b32 s11, 0
.LBB46_251:                             ;   in Loop: Header=BB46_244 Depth=1
	s_andn2_b32 vcc_lo, exec_lo, s11
	s_cbranch_vccnz .LBB46_243
; %bb.252:                              ;   in Loop: Header=BB46_244 Depth=1
	s_add_i32 s10, s16, -4
	s_branch .LBB46_243
.LBB46_253:
	s_cmp_lt_i32 s48, 2
	s_mov_b32 s15, 2
	s_cbranch_scc1 .LBB46_262
; %bb.254:
	s_add_u32 s4, s52, s54
	v_mov_b32_e32 v4, 0
	s_addc_u32 s5, s53, s55
	s_add_u32 s4, s4, 8
	s_addc_u32 s5, s5, 0
	s_mov_b32 s8, 1
	s_mov_b32 s9, 0
	s_inst_prefetch 0x1
	s_branch .LBB46_256
	.p2align	6
.LBB46_255:                             ;   in Loop: Header=BB46_256 Depth=1
	s_ashr_i32 s11, s10, 31
	s_lshl_b64 s[10:11], s[10:11], 3
	s_add_u32 s10, s36, s10
	s_addc_u32 s11, s37, s11
	s_add_i32 s8, s8, 1
	s_add_i32 s15, s15, 1
	s_add_u32 s4, s4, 8
	s_addc_u32 s5, s5, 0
	s_cmp_eq_u32 s8, s48
	global_store_dwordx2 v4, v[0:1], s[10:11]
	s_cbranch_scc1 .LBB46_262
.LBB46_256:                             ; =>This Loop Header: Depth=1
                                        ;     Child Loop BB46_258 Depth 2
	s_lshl_b64 s[10:11], s[8:9], 3
	s_mov_b64 s[12:13], s[4:5]
	s_add_u32 s10, s36, s10
	s_addc_u32 s11, s37, s11
	s_mov_b32 s17, s15
	global_load_dwordx2 v[0:1], v4, s[10:11]
	s_branch .LBB46_258
	.p2align	6
.LBB46_257:                             ;   in Loop: Header=BB46_258 Depth=2
	s_andn2_b32 vcc_lo, exec_lo, s19
	s_mov_b64 s[12:13], s[10:11]
	s_cbranch_vccz .LBB46_260
.LBB46_258:                             ;   Parent Loop BB46_256 Depth=1
                                        ; =>  This Inner Loop Header: Depth=2
	global_load_dwordx2 v[2:3], v4, s[12:13] offset:-8
	s_add_u32 s10, s12, -8
	s_mov_b32 s16, s17
	s_addc_u32 s11, s13, -1
	s_mov_b32 s18, -1
	s_mov_b32 s19, -1
                                        ; implicit-def: $sgpr17
	s_waitcnt vmcnt(0)
	v_cmp_nlt_f64_e32 vcc_lo, v[2:3], v[0:1]
	s_cbranch_vccnz .LBB46_257
; %bb.259:                              ;   in Loop: Header=BB46_258 Depth=2
	s_add_i32 s17, s16, -1
	s_mov_b32 s18, 0
	s_cmp_lt_i32 s17, 2
	global_store_dwordx2 v4, v[2:3], s[12:13]
	s_cselect_b32 s19, -1, 0
	s_branch .LBB46_257
.LBB46_260:                             ;   in Loop: Header=BB46_256 Depth=1
	s_and_b32 vcc_lo, exec_lo, s18
	s_mov_b32 s10, 0
	s_cbranch_vccz .LBB46_255
; %bb.261:                              ;   in Loop: Header=BB46_256 Depth=1
	s_add_i32 s10, s16, -1
	s_branch .LBB46_255
.LBB46_262:
	s_inst_prefetch 0x2
	s_or_b32 exec_lo, exec_lo, s14
	s_cmp_lt_i32 s48, 2
	s_mov_b32 s59, 0
	s_cselect_b32 s9, -1, 0
	s_waitcnt_vscnt null, 0x0
	s_and_b32 vcc_lo, exec_lo, s9
	s_barrier
	buffer_gl0_inv
	s_cbranch_vccnz .LBB46_270
; %bb.263:
	s_add_i32 s8, s48, -1
	s_mov_b32 s9, -1
	s_mov_b32 s4, 0
	s_mov_b32 s5, exec_lo
	v_cmpx_gt_u32_e64 s8, v40
	s_cbranch_execz .LBB46_272
; %bb.264:
	v_mov_b32_e32 v1, 0
	v_mov_b32_e32 v0, v40
	s_mov_b32 s9, 0
                                        ; implicit-def: $sgpr10
	s_inst_prefetch 0x1
	s_branch .LBB46_266
	.p2align	6
.LBB46_265:                             ;   in Loop: Header=BB46_266 Depth=1
	s_or_b32 exec_lo, exec_lo, s13
	s_xor_b32 s11, s12, -1
	s_and_b32 s4, exec_lo, s4
	s_or_b32 s9, s4, s9
	s_andn2_b32 s4, s10, exec_lo
	s_and_b32 s10, s11, exec_lo
	s_or_b32 s10, s4, s10
	s_andn2_b32 exec_lo, exec_lo, s9
	s_cbranch_execz .LBB46_271
.LBB46_266:                             ; =>This Inner Loop Header: Depth=1
	v_lshlrev_b64 v[2:3], 3, v[0:1]
	s_mov_b32 s12, exec_lo
	v_add_co_u32 v2, vcc_lo, s36, v2
	v_add_co_ci_u32_e64 v3, null, s37, v3, vcc_lo
	global_load_dwordx2 v[4:5], v[2:3], off
	s_waitcnt vmcnt(0)
	v_cmp_u_f64_e64 s11, v[4:5], v[4:5]
	v_cmpx_o_f64_e32 v[4:5], v[4:5]
	s_cbranch_execz .LBB46_268
; %bb.267:                              ;   in Loop: Header=BB46_266 Depth=1
	global_load_dwordx2 v[2:3], v[2:3], off offset:8
	s_andn2_b32 s11, s11, exec_lo
	s_waitcnt vmcnt(0)
	v_cmp_u_f64_e32 vcc_lo, v[2:3], v[2:3]
	v_cmp_ge_f64_e64 s4, v[4:5], v[2:3]
	s_or_b32 s4, vcc_lo, s4
	s_and_b32 s4, s4, exec_lo
	s_or_b32 s11, s11, s4
.LBB46_268:                             ;   in Loop: Header=BB46_266 Depth=1
	s_or_b32 exec_lo, exec_lo, s12
	s_mov_b32 s4, -1
	s_mov_b32 s12, -1
	s_and_saveexec_b32 s13, s11
	s_cbranch_execz .LBB46_265
; %bb.269:                              ;   in Loop: Header=BB46_266 Depth=1
	v_add_nc_u32_e32 v0, s46, v0
	s_xor_b32 s12, exec_lo, -1
	v_cmp_le_u32_e32 vcc_lo, s8, v0
	s_orn2_b32 s4, vcc_lo, exec_lo
	s_branch .LBB46_265
.LBB46_270:
	s_mov_b32 s4, 0
	s_branch .LBB46_273
.LBB46_271:
	s_inst_prefetch 0x2
	s_or_b32 exec_lo, exec_lo, s9
	s_mov_b32 s4, exec_lo
	s_orn2_b32 s9, s10, exec_lo
.LBB46_272:
	s_or_b32 exec_lo, exec_lo, s5
.LBB46_273:
	s_and_saveexec_b32 s5, s9
	s_cbranch_execz .LBB46_275
; %bb.274:
	s_mov_b32 s59, exec_lo
	s_barrier
	s_andn2_b32 s4, s4, exec_lo
	buffer_gl0_inv
.LBB46_275:
	s_or_b32 exec_lo, exec_lo, s5
	s_and_saveexec_b32 s40, s4
	s_cbranch_execz .LBB46_277
; %bb.276:
	s_add_u32 s8, s6, 0x90
	s_addc_u32 s9, s7, 0
	s_getpc_b64 s[4:5]
	s_add_u32 s4, s4, __PRETTY_FUNCTION__._ZN9rocsolver6v33100L21shell_sort_descendingIdiEEvT0_PT_PS2_@rel32@lo+4
	s_addc_u32 s5, s5, __PRETTY_FUNCTION__._ZN9rocsolver6v33100L21shell_sort_descendingIdiEEvT0_PT_PS2_@rel32@hi+12
	v_mov_b32_e32 v0, s4
	v_mov_b32_e32 v1, s5
	s_getpc_b64 s[6:7]
	s_add_u32 s6, s6, __assert_fail@rel32@lo+4
	s_addc_u32 s7, s7, __assert_fail@rel32@hi+12
	s_swappc_b64 s[30:31], s[6:7]
	s_or_b32 s56, s56, exec_lo
.LBB46_277:
	s_or_b32 exec_lo, exec_lo, s40
.LBB46_278:
	s_and_saveexec_b32 s4, s56
; %bb.279:
	; divergent unreachable
; %bb.280:
	s_or_b32 exec_lo, exec_lo, s4
	s_and_saveexec_b32 s4, s59
	s_cbranch_execz .LBB46_282
; %bb.281:
	s_waitcnt_vscnt null, 0x0
	s_barrier
	buffer_gl0_inv
.LBB46_282:
	s_or_b32 exec_lo, exec_lo, s4
	s_cbranch_execnz .LBB46_306
.LBB46_283:
	s_cmp_lt_i32 s48, 2
	s_cbranch_scc1 .LBB46_306
; %bb.284:
	s_cmp_lg_u32 s49, 0
	v_mul_lo_u32 v3, s47, v40
	s_cselect_b32 s18, -1, 0
	s_cmp_lg_u32 s50, 0
	v_mul_lo_u32 v4, s61, v40
	s_cselect_b32 s19, -1, 0
	s_cmp_lg_u32 s51, 0
	v_lshl_add_u32 v2, v41, 4, 0xc000
	s_cselect_b32 s20, -1, 0
	s_add_i32 s21, s48, -2
	v_cmp_eq_u32_e64 s4, 0, v40
	v_cmp_gt_i32_e64 s5, s49, v40
	v_cmp_gt_i32_e64 s6, s50, v40
	;; [unrolled: 1-line block ×3, first 2 shown]
	s_add_u32 s8, s52, s54
	v_mov_b32_e32 v5, 0
	s_addc_u32 s11, s53, s55
	s_add_u32 s10, s8, 8
	s_mov_b32 s9, 0
	s_addc_u32 s11, s11, 0
	s_mul_i32 s22, s47, s25
	s_mul_i32 s23, s61, s25
	s_mov_b32 s24, 0
	s_mov_b32 s30, 0
	s_branch .LBB46_287
.LBB46_285:                             ;   in Loop: Header=BB46_287 Depth=1
	s_inst_prefetch 0x2
	s_or_b32 exec_lo, exec_lo, s13
	s_waitcnt lgkmcnt(0)
	s_waitcnt_vscnt null, 0x0
	s_barrier
	buffer_gl0_inv
.LBB46_286:                             ;   in Loop: Header=BB46_287 Depth=1
	s_add_u32 s10, s10, 8
	s_addc_u32 s11, s11, 0
	s_add_i32 s24, s24, s43
	s_cmp_eq_u32 s8, s21
	s_cbranch_scc1 .LBB46_306
.LBB46_287:                             ; =>This Loop Header: Depth=1
                                        ;     Child Loop BB46_288 Depth 2
                                        ;     Child Loop BB46_295 Depth 2
	;; [unrolled: 1-line block ×4, first 2 shown]
	s_mov_b32 s8, s30
	s_mov_b64 s[16:17], s[10:11]
	s_lshl_b64 s[12:13], s[8:9], 3
	s_add_u32 s14, s36, s12
	s_addc_u32 s15, s37, s13
	s_add_i32 s30, s30, 1
	global_load_dwordx2 v[0:1], v5, s[14:15]
	s_mov_b32 s13, s30
	s_mov_b32 s12, s8
.LBB46_288:                             ;   Parent Loop BB46_287 Depth=1
                                        ; =>  This Inner Loop Header: Depth=2
	global_load_dwordx2 v[6:7], v5, s[16:17]
	s_waitcnt vmcnt(0)
	v_cmp_gt_f64_e32 vcc_lo, v[6:7], v[0:1]
	s_and_b32 s31, vcc_lo, exec_lo
	v_cndmask_b32_e32 v1, v1, v7, vcc_lo
	v_cndmask_b32_e32 v0, v0, v6, vcc_lo
	s_cselect_b32 s12, s13, s12
	s_add_i32 s13, s13, 1
	s_add_u32 s16, s16, 8
	s_addc_u32 s17, s17, 0
	s_cmp_lg_u32 s48, s13
	s_cbranch_scc1 .LBB46_288
; %bb.289:                              ;   in Loop: Header=BB46_287 Depth=1
	s_cmp_eq_u32 s12, s8
	s_waitcnt_vscnt null, 0x0
	s_barrier
	buffer_gl0_inv
	s_cbranch_scc1 .LBB46_286
; %bb.290:                              ;   in Loop: Header=BB46_287 Depth=1
	s_and_saveexec_b32 s16, s4
	s_cbranch_execz .LBB46_292
; %bb.291:                              ;   in Loop: Header=BB46_287 Depth=1
	global_load_dwordx2 v[6:7], v5, s[14:15]
	s_ashr_i32 s13, s12, 31
	s_lshl_b64 s[40:41], s[12:13], 3
	s_add_u32 s40, s36, s40
	s_addc_u32 s41, s37, s41
	s_waitcnt vmcnt(0)
	global_store_dwordx2 v5, v[6:7], s[40:41]
	global_store_dwordx2 v5, v[0:1], s[14:15]
.LBB46_292:                             ;   in Loop: Header=BB46_287 Depth=1
	s_or_b32 exec_lo, exec_lo, s16
	s_andn2_b32 vcc_lo, exec_lo, s18
	s_cbranch_vccnz .LBB46_297
; %bb.293:                              ;   in Loop: Header=BB46_287 Depth=1
	s_and_saveexec_b32 s13, s5
	s_cbranch_execz .LBB46_296
; %bb.294:                              ;   in Loop: Header=BB46_287 Depth=1
	v_mov_b32_e32 v0, v3
	v_mov_b32_e32 v1, v40
	s_mov_b32 s14, 0
	.p2align	6
.LBB46_295:                             ;   Parent Loop BB46_287 Depth=1
                                        ; =>  This Inner Loop Header: Depth=2
	v_add_nc_u32_e32 v6, s8, v0
	v_add_nc_u32_e32 v8, s12, v0
	;; [unrolled: 1-line block ×4, first 2 shown]
	v_ashrrev_i32_e32 v7, 31, v6
	v_ashrrev_i32_e32 v9, 31, v8
	v_lshlrev_b64 v[6:7], 4, v[6:7]
	v_lshlrev_b64 v[8:9], 4, v[8:9]
	v_add_co_u32 v14, vcc_lo, s34, v6
	v_add_co_ci_u32_e64 v15, null, s35, v7, vcc_lo
	v_add_co_u32 v16, vcc_lo, s34, v8
	v_add_co_ci_u32_e64 v17, null, s35, v9, vcc_lo
	s_clause 0x1
	global_load_dwordx4 v[6:9], v[14:15], off
	global_load_dwordx4 v[10:13], v[16:17], off
	v_cmp_le_i32_e32 vcc_lo, s49, v1
	s_waitcnt vmcnt(1)
	global_store_dwordx4 v[16:17], v[6:9], off
	s_waitcnt vmcnt(0)
	global_store_dwordx4 v[14:15], v[10:13], off
	s_or_b32 s14, vcc_lo, s14
	s_andn2_b32 exec_lo, exec_lo, s14
	s_cbranch_execnz .LBB46_295
.LBB46_296:                             ;   in Loop: Header=BB46_287 Depth=1
	s_or_b32 exec_lo, exec_lo, s13
	s_waitcnt_vscnt null, 0x0
	s_barrier
	buffer_gl0_inv
.LBB46_297:                             ;   in Loop: Header=BB46_287 Depth=1
	s_andn2_b32 vcc_lo, exec_lo, s19
	s_cbranch_vccnz .LBB46_302
; %bb.298:                              ;   in Loop: Header=BB46_287 Depth=1
	s_and_saveexec_b32 s13, s6
	s_cbranch_execz .LBB46_301
; %bb.299:                              ;   in Loop: Header=BB46_287 Depth=1
	v_mov_b32_e32 v0, v40
	s_mul_i32 s14, s12, s43
	s_mov_b32 s15, 0
	.p2align	6
.LBB46_300:                             ;   Parent Loop BB46_287 Depth=1
                                        ; =>  This Inner Loop Header: Depth=2
	v_add_nc_u32_e32 v6, s24, v0
	v_add_nc_u32_e32 v8, s14, v0
	;; [unrolled: 1-line block ×3, first 2 shown]
	v_ashrrev_i32_e32 v7, 31, v6
	v_ashrrev_i32_e32 v9, 31, v8
	v_lshlrev_b64 v[6:7], 4, v[6:7]
	v_lshlrev_b64 v[8:9], 4, v[8:9]
	v_add_co_u32 v14, vcc_lo, s28, v6
	v_add_co_ci_u32_e64 v15, null, s29, v7, vcc_lo
	v_add_co_u32 v16, vcc_lo, s28, v8
	v_add_co_ci_u32_e64 v17, null, s29, v9, vcc_lo
	s_clause 0x1
	global_load_dwordx4 v[6:9], v[14:15], off
	global_load_dwordx4 v[10:13], v[16:17], off
	v_cmp_le_i32_e32 vcc_lo, s50, v0
	s_waitcnt vmcnt(1)
	global_store_dwordx4 v[16:17], v[6:9], off
	s_waitcnt vmcnt(0)
	global_store_dwordx4 v[14:15], v[10:13], off
	s_or_b32 s15, vcc_lo, s15
	s_andn2_b32 exec_lo, exec_lo, s15
	s_cbranch_execnz .LBB46_300
.LBB46_301:                             ;   in Loop: Header=BB46_287 Depth=1
	s_or_b32 exec_lo, exec_lo, s13
	s_waitcnt_vscnt null, 0x0
	s_barrier
	buffer_gl0_inv
.LBB46_302:                             ;   in Loop: Header=BB46_287 Depth=1
	s_andn2_b32 vcc_lo, exec_lo, s20
	s_cbranch_vccnz .LBB46_286
; %bb.303:                              ;   in Loop: Header=BB46_287 Depth=1
	s_and_saveexec_b32 s13, s7
	s_cbranch_execz .LBB46_285
; %bb.304:                              ;   in Loop: Header=BB46_287 Depth=1
	v_mov_b32_e32 v0, v4
	v_mov_b32_e32 v1, v40
	s_mov_b32 s14, 0
	s_inst_prefetch 0x1
	.p2align	6
.LBB46_305:                             ;   Parent Loop BB46_287 Depth=1
                                        ; =>  This Inner Loop Header: Depth=2
	v_add_nc_u32_e32 v6, s12, v0
	v_add_nc_u32_e32 v8, s8, v0
	;; [unrolled: 1-line block ×4, first 2 shown]
	v_ashrrev_i32_e32 v7, 31, v6
	v_ashrrev_i32_e32 v9, 31, v8
	v_lshlrev_b64 v[6:7], 4, v[6:7]
	v_lshlrev_b64 v[8:9], 4, v[8:9]
	v_add_co_u32 v14, vcc_lo, s44, v6
	v_add_co_ci_u32_e64 v15, null, s45, v7, vcc_lo
	v_add_co_u32 v16, vcc_lo, s44, v8
	v_add_co_ci_u32_e64 v17, null, s45, v9, vcc_lo
	s_clause 0x1
	global_load_dwordx4 v[6:9], v[14:15], off
	global_load_dwordx4 v[10:13], v[16:17], off
	v_cmp_le_i32_e32 vcc_lo, s51, v1
	s_or_b32 s14, vcc_lo, s14
	s_waitcnt vmcnt(1)
	ds_write2_b64 v2, v[6:7], v[8:9] offset1:1
	s_waitcnt vmcnt(0)
	global_store_dwordx4 v[14:15], v[10:13], off
	global_store_dwordx4 v[16:17], v[6:9], off
	s_andn2_b32 exec_lo, exec_lo, s14
	s_cbranch_execnz .LBB46_305
	s_branch .LBB46_285
.LBB46_306:
	s_mov_b32 s8, 0
.LBB46_307:
	s_andn2_b32 vcc_lo, exec_lo, s8
	s_cbranch_vccnz .LBB46_310
; %bb.308:
	s_mov_b32 s4, exec_lo
	v_cmpx_eq_u32_e32 0, v40
	s_cbranch_execz .LBB46_310
; %bb.309:
	v_mov_b32_e32 v0, 0
	v_mov_b32_e32 v1, s42
	s_add_u32 s4, s38, s26
	s_addc_u32 s5, s39, s27
	global_store_dword v0, v1, s[4:5]
.LBB46_310:
	s_endpgm
	.section	.rodata,"a",@progbits
	.p2align	6, 0x0
	.amdhsa_kernel _ZN9rocsolver6v33100L14bdsqr_finalizeI19rocblas_complex_numIdEdPS3_S4_S4_EEviiiiPT0_lS6_lT1_iilT2_iilT3_iilPiSA_SA_
		.amdhsa_group_segment_fixed_size 65536
		.amdhsa_private_segment_fixed_size 112
		.amdhsa_kernarg_size 400
		.amdhsa_user_sgpr_count 10
		.amdhsa_user_sgpr_private_segment_buffer 1
		.amdhsa_user_sgpr_dispatch_ptr 1
		.amdhsa_user_sgpr_queue_ptr 0
		.amdhsa_user_sgpr_kernarg_segment_ptr 1
		.amdhsa_user_sgpr_dispatch_id 0
		.amdhsa_user_sgpr_flat_scratch_init 1
		.amdhsa_user_sgpr_private_segment_size 0
		.amdhsa_wavefront_size32 1
		.amdhsa_uses_dynamic_stack 0
		.amdhsa_system_sgpr_private_segment_wavefront_offset 1
		.amdhsa_system_sgpr_workgroup_id_x 1
		.amdhsa_system_sgpr_workgroup_id_y 1
		.amdhsa_system_sgpr_workgroup_id_z 0
		.amdhsa_system_sgpr_workgroup_info 0
		.amdhsa_system_vgpr_workitem_id 2
		.amdhsa_next_free_vgpr 45
		.amdhsa_next_free_sgpr 64
		.amdhsa_reserve_vcc 1
		.amdhsa_reserve_flat_scratch 1
		.amdhsa_float_round_mode_32 0
		.amdhsa_float_round_mode_16_64 0
		.amdhsa_float_denorm_mode_32 3
		.amdhsa_float_denorm_mode_16_64 3
		.amdhsa_dx10_clamp 1
		.amdhsa_ieee_mode 1
		.amdhsa_fp16_overflow 0
		.amdhsa_workgroup_processor_mode 1
		.amdhsa_memory_ordered 1
		.amdhsa_forward_progress 1
		.amdhsa_shared_vgpr_count 0
		.amdhsa_exception_fp_ieee_invalid_op 0
		.amdhsa_exception_fp_denorm_src 0
		.amdhsa_exception_fp_ieee_div_zero 0
		.amdhsa_exception_fp_ieee_overflow 0
		.amdhsa_exception_fp_ieee_underflow 0
		.amdhsa_exception_fp_ieee_inexact 0
		.amdhsa_exception_int_div_zero 0
	.end_amdhsa_kernel
	.section	.text._ZN9rocsolver6v33100L14bdsqr_finalizeI19rocblas_complex_numIdEdPS3_S4_S4_EEviiiiPT0_lS6_lT1_iilT2_iilT3_iilPiSA_SA_,"axG",@progbits,_ZN9rocsolver6v33100L14bdsqr_finalizeI19rocblas_complex_numIdEdPS3_S4_S4_EEviiiiPT0_lS6_lT1_iilT2_iilT3_iilPiSA_SA_,comdat
.Lfunc_end46:
	.size	_ZN9rocsolver6v33100L14bdsqr_finalizeI19rocblas_complex_numIdEdPS3_S4_S4_EEviiiiPT0_lS6_lT1_iilT2_iilT3_iilPiSA_SA_, .Lfunc_end46-_ZN9rocsolver6v33100L14bdsqr_finalizeI19rocblas_complex_numIdEdPS3_S4_S4_EEviiiiPT0_lS6_lT1_iilT2_iilT3_iilPiSA_SA_
                                        ; -- End function
	.set _ZN9rocsolver6v33100L14bdsqr_finalizeI19rocblas_complex_numIdEdPS3_S4_S4_EEviiiiPT0_lS6_lT1_iilT2_iilT3_iilPiSA_SA_.num_vgpr, max(45, .L__assert_fail.num_vgpr)
	.set _ZN9rocsolver6v33100L14bdsqr_finalizeI19rocblas_complex_numIdEdPS3_S4_S4_EEviiiiPT0_lS6_lT1_iilT2_iilT3_iilPiSA_SA_.num_agpr, max(0, .L__assert_fail.num_agpr)
	.set _ZN9rocsolver6v33100L14bdsqr_finalizeI19rocblas_complex_numIdEdPS3_S4_S4_EEviiiiPT0_lS6_lT1_iilT2_iilT3_iilPiSA_SA_.numbered_sgpr, max(64, .L__assert_fail.numbered_sgpr)
	.set _ZN9rocsolver6v33100L14bdsqr_finalizeI19rocblas_complex_numIdEdPS3_S4_S4_EEviiiiPT0_lS6_lT1_iilT2_iilT3_iilPiSA_SA_.num_named_barrier, max(0, .L__assert_fail.num_named_barrier)
	.set _ZN9rocsolver6v33100L14bdsqr_finalizeI19rocblas_complex_numIdEdPS3_S4_S4_EEviiiiPT0_lS6_lT1_iilT2_iilT3_iilPiSA_SA_.private_seg_size, 48+max(.L__assert_fail.private_seg_size)
	.set _ZN9rocsolver6v33100L14bdsqr_finalizeI19rocblas_complex_numIdEdPS3_S4_S4_EEviiiiPT0_lS6_lT1_iilT2_iilT3_iilPiSA_SA_.uses_vcc, or(1, .L__assert_fail.uses_vcc)
	.set _ZN9rocsolver6v33100L14bdsqr_finalizeI19rocblas_complex_numIdEdPS3_S4_S4_EEviiiiPT0_lS6_lT1_iilT2_iilT3_iilPiSA_SA_.uses_flat_scratch, or(1, .L__assert_fail.uses_flat_scratch)
	.set _ZN9rocsolver6v33100L14bdsqr_finalizeI19rocblas_complex_numIdEdPS3_S4_S4_EEviiiiPT0_lS6_lT1_iilT2_iilT3_iilPiSA_SA_.has_dyn_sized_stack, or(0, .L__assert_fail.has_dyn_sized_stack)
	.set _ZN9rocsolver6v33100L14bdsqr_finalizeI19rocblas_complex_numIdEdPS3_S4_S4_EEviiiiPT0_lS6_lT1_iilT2_iilT3_iilPiSA_SA_.has_recursion, or(0, .L__assert_fail.has_recursion)
	.set _ZN9rocsolver6v33100L14bdsqr_finalizeI19rocblas_complex_numIdEdPS3_S4_S4_EEviiiiPT0_lS6_lT1_iilT2_iilT3_iilPiSA_SA_.has_indirect_call, or(0, .L__assert_fail.has_indirect_call)
	.section	.AMDGPU.csdata,"",@progbits
; Kernel info:
; codeLenInByte = 9348
; TotalNumSgprs: 66
; NumVgprs: 45
; ScratchSize: 112
; MemoryBound: 0
; FloatMode: 240
; IeeeMode: 1
; LDSByteSize: 65536 bytes/workgroup (compile time only)
; SGPRBlocks: 0
; VGPRBlocks: 5
; NumSGPRsForWavesPerEU: 66
; NumVGPRsForWavesPerEU: 45
; Occupancy: 16
; WaveLimiterHint : 1
; COMPUTE_PGM_RSRC2:SCRATCH_EN: 1
; COMPUTE_PGM_RSRC2:USER_SGPR: 10
; COMPUTE_PGM_RSRC2:TRAP_HANDLER: 0
; COMPUTE_PGM_RSRC2:TGID_X_EN: 1
; COMPUTE_PGM_RSRC2:TGID_Y_EN: 1
; COMPUTE_PGM_RSRC2:TGID_Z_EN: 0
; COMPUTE_PGM_RSRC2:TIDIG_COMP_CNT: 2
	.text
	.p2alignl 6, 3214868480
	.fill 48, 4, 3214868480
	.section	.AMDGPU.gpr_maximums,"",@progbits
	.set amdgpu.max_num_vgpr, 40
	.set amdgpu.max_num_agpr, 0
	.set amdgpu.max_num_sgpr, 34
	.text
	.type	__const.__assert_fail.fmt,@object ; @__const.__assert_fail.fmt
	.section	.rodata.str1.16,"aMS",@progbits,1
	.p2align	4, 0x0
__const.__assert_fail.fmt:
	.asciz	"%s:%u: %s: Device-side assertion `%s' failed.\n"
	.size	__const.__assert_fail.fmt, 47

	.type	.str.5,@object                  ; @.str.5
	.section	.rodata.str1.1,"aMS",@progbits,1
.str.5:
	.asciz	"std::isnan(a[k]) || std::isnan(a[k + 1]) || a[k] >= a[k + 1]"
	.size	.str.5, 61

	.type	.str.6,@object                  ; @.str.6
.str.6:
	.asciz	"/root/src/amdgpu-assembly/repos/ROCm__rocSOLVER/library/src/include/lib_device_helpers.hpp"
	.size	.str.6, 91

	.type	__PRETTY_FUNCTION__._ZN9rocsolver6v33100L21shell_sort_descendingIfiEEvT0_PT_PS2_,@object ; @__PRETTY_FUNCTION__._ZN9rocsolver6v33100L21shell_sort_descendingIfiEEvT0_PT_PS2_
__PRETTY_FUNCTION__._ZN9rocsolver6v33100L21shell_sort_descendingIfiEEvT0_PT_PS2_:
	.asciz	"void rocsolver::shell_sort_descending(const I, S *, I *) [S = float, I = int]"
	.size	__PRETTY_FUNCTION__._ZN9rocsolver6v33100L21shell_sort_descendingIfiEEvT0_PT_PS2_, 78

	.type	__PRETTY_FUNCTION__._ZN9rocsolver6v33100L21shell_sort_descendingIdiEEvT0_PT_PS2_,@object ; @__PRETTY_FUNCTION__._ZN9rocsolver6v33100L21shell_sort_descendingIdiEEvT0_PT_PS2_
__PRETTY_FUNCTION__._ZN9rocsolver6v33100L21shell_sort_descendingIdiEEvT0_PT_PS2_:
	.asciz	"void rocsolver::shell_sort_descending(const I, S *, I *) [S = double, I = int]"
	.size	__PRETTY_FUNCTION__._ZN9rocsolver6v33100L21shell_sort_descendingIdiEEvT0_PT_PS2_, 79

	.type	__hip_cuid_bc63f06770f0527c,@object ; @__hip_cuid_bc63f06770f0527c
	.section	.bss,"aw",@nobits
	.globl	__hip_cuid_bc63f06770f0527c
__hip_cuid_bc63f06770f0527c:
	.byte	0                               ; 0x0
	.size	__hip_cuid_bc63f06770f0527c, 1

	.ident	"AMD clang version 22.0.0git (https://github.com/RadeonOpenCompute/llvm-project roc-7.2.4 26084 f58b06dce1f9c15707c5f808fd002e18c2accf7e)"
	.section	".note.GNU-stack","",@progbits
	.addrsig
	.addrsig_sym __hip_cuid_bc63f06770f0527c
	.amdgpu_metadata
---
amdhsa.kernels:
  - .args:
      - .address_space:  global
        .offset:         0
        .size:           8
        .value_kind:     global_buffer
      - .offset:         8
        .size:           4
        .value_kind:     by_value
      - .offset:         12
        .size:           4
        .value_kind:     by_value
      - .offset:         16
        .size:           4
        .value_kind:     by_value
      - .offset:         24
        .size:           4
        .value_kind:     hidden_block_count_x
      - .offset:         28
        .size:           4
        .value_kind:     hidden_block_count_y
      - .offset:         32
        .size:           4
        .value_kind:     hidden_block_count_z
      - .offset:         36
        .size:           2
        .value_kind:     hidden_group_size_x
      - .offset:         38
        .size:           2
        .value_kind:     hidden_group_size_y
      - .offset:         40
        .size:           2
        .value_kind:     hidden_group_size_z
      - .offset:         42
        .size:           2
        .value_kind:     hidden_remainder_x
      - .offset:         44
        .size:           2
        .value_kind:     hidden_remainder_y
      - .offset:         46
        .size:           2
        .value_kind:     hidden_remainder_z
      - .offset:         64
        .size:           8
        .value_kind:     hidden_global_offset_x
      - .offset:         72
        .size:           8
        .value_kind:     hidden_global_offset_y
      - .offset:         80
        .size:           8
        .value_kind:     hidden_global_offset_z
      - .offset:         88
        .size:           2
        .value_kind:     hidden_grid_dims
    .group_segment_fixed_size: 0
    .kernarg_segment_align: 8
    .kernarg_segment_size: 280
    .language:       OpenCL C
    .language_version:
      - 2
      - 0
    .max_flat_workgroup_size: 1024
    .name:           _ZN9rocsolver6v33100L10reset_infoIiiiEEvPT_T0_T1_S4_
    .private_segment_fixed_size: 0
    .sgpr_count:     10
    .sgpr_spill_count: 0
    .symbol:         _ZN9rocsolver6v33100L10reset_infoIiiiEEvPT_T0_T1_S4_.kd
    .uniform_work_group_size: 1
    .uses_dynamic_stack: false
    .vgpr_count:     5
    .vgpr_spill_count: 0
    .wavefront_size: 32
    .workgroup_processor_mode: 1
  - .args:
      - .offset:         0
        .size:           4
        .value_kind:     by_value
      - .address_space:  global
        .offset:         8
        .size:           8
        .value_kind:     global_buffer
      - .offset:         16
        .size:           8
        .value_kind:     by_value
      - .address_space:  global
        .offset:         24
        .size:           8
        .value_kind:     global_buffer
      - .offset:         32
        .size:           8
        .value_kind:     by_value
      - .address_space:  global
        .offset:         40
        .size:           8
        .value_kind:     global_buffer
      - .offset:         48
        .size:           4
        .value_kind:     by_value
      - .offset:         52
        .size:           4
        .value_kind:     by_value
      - .offset:         56
        .size:           4
        .value_kind:     by_value
      - .address_space:  global
        .offset:         64
        .size:           8
        .value_kind:     global_buffer
      - .address_space:  global
        .offset:         72
        .size:           8
        .value_kind:     global_buffer
      - .offset:         80
        .size:           8
        .value_kind:     by_value
      - .address_space:  global
        .offset:         88
        .size:           8
        .value_kind:     global_buffer
    .group_segment_fixed_size: 0
    .kernarg_segment_align: 8
    .kernarg_segment_size: 96
    .language:       OpenCL C
    .language_version:
      - 2
      - 0
    .max_flat_workgroup_size: 1024
    .name:           _ZN9rocsolver6v33100L10bdsqr_initIffEEviPT0_lS3_lPiiS2_S2_S4_S3_lS4_
    .private_segment_fixed_size: 0
    .sgpr_count:     42
    .sgpr_spill_count: 0
    .symbol:         _ZN9rocsolver6v33100L10bdsqr_initIffEEviPT0_lS3_lPiiS2_S2_S4_S3_lS4_.kd
    .uniform_work_group_size: 1
    .uses_dynamic_stack: false
    .vgpr_count:     10
    .vgpr_spill_count: 0
    .wavefront_size: 32
    .workgroup_processor_mode: 1
  - .args:
      - .offset:         0
        .size:           4
        .value_kind:     by_value
      - .address_space:  global
        .offset:         8
        .size:           8
        .value_kind:     global_buffer
      - .offset:         16
        .size:           4
        .value_kind:     by_value
      - .address_space:  global
        .offset:         24
        .size:           8
        .value_kind:     global_buffer
      - .offset:         32
        .size:           4
        .value_kind:     by_value
      - .offset:         40
        .size:           4
        .value_kind:     hidden_block_count_x
      - .offset:         44
        .size:           4
        .value_kind:     hidden_block_count_y
      - .offset:         48
        .size:           4
        .value_kind:     hidden_block_count_z
      - .offset:         52
        .size:           2
        .value_kind:     hidden_group_size_x
      - .offset:         54
        .size:           2
        .value_kind:     hidden_group_size_y
      - .offset:         56
        .size:           2
        .value_kind:     hidden_group_size_z
      - .offset:         58
        .size:           2
        .value_kind:     hidden_remainder_x
      - .offset:         60
        .size:           2
        .value_kind:     hidden_remainder_y
      - .offset:         62
        .size:           2
        .value_kind:     hidden_remainder_z
      - .offset:         80
        .size:           8
        .value_kind:     hidden_global_offset_x
      - .offset:         88
        .size:           8
        .value_kind:     hidden_global_offset_y
      - .offset:         96
        .size:           8
        .value_kind:     hidden_global_offset_z
      - .offset:         104
        .size:           2
        .value_kind:     hidden_grid_dims
    .group_segment_fixed_size: 0
    .kernarg_segment_align: 8
    .kernarg_segment_size: 296
    .language:       OpenCL C
    .language_version:
      - 2
      - 0
    .max_flat_workgroup_size: 1024
    .name:           _ZN9rocsolver6v33100L11swap_kernelIfiEEvT0_PT_S2_S4_S2_
    .private_segment_fixed_size: 0
    .sgpr_count:     16
    .sgpr_spill_count: 0
    .symbol:         _ZN9rocsolver6v33100L11swap_kernelIfiEEvT0_PT_S2_S4_S2_.kd
    .uniform_work_group_size: 1
    .uses_dynamic_stack: false
    .vgpr_count:     9
    .vgpr_spill_count: 0
    .wavefront_size: 32
    .workgroup_processor_mode: 1
  - .args:
      - .offset:         0
        .size:           4
        .value_kind:     by_value
      - .address_space:  global
        .offset:         8
        .size:           8
        .value_kind:     global_buffer
      - .offset:         16
        .size:           4
        .value_kind:     by_value
      - .address_space:  global
        .offset:         24
        .size:           8
        .value_kind:     global_buffer
      - .offset:         32
        .size:           4
        .value_kind:     by_value
      - .offset:         36
        .size:           4
        .value_kind:     by_value
      - .offset:         40
        .size:           4
        .value_kind:     by_value
      - .offset:         48
        .size:           4
        .value_kind:     hidden_block_count_x
      - .offset:         52
        .size:           4
        .value_kind:     hidden_block_count_y
      - .offset:         56
        .size:           4
        .value_kind:     hidden_block_count_z
      - .offset:         60
        .size:           2
        .value_kind:     hidden_group_size_x
      - .offset:         62
        .size:           2
        .value_kind:     hidden_group_size_y
      - .offset:         64
        .size:           2
        .value_kind:     hidden_group_size_z
      - .offset:         66
        .size:           2
        .value_kind:     hidden_remainder_x
      - .offset:         68
        .size:           2
        .value_kind:     hidden_remainder_y
      - .offset:         70
        .size:           2
        .value_kind:     hidden_remainder_z
      - .offset:         88
        .size:           8
        .value_kind:     hidden_global_offset_x
      - .offset:         96
        .size:           8
        .value_kind:     hidden_global_offset_y
      - .offset:         104
        .size:           8
        .value_kind:     hidden_global_offset_z
      - .offset:         112
        .size:           2
        .value_kind:     hidden_grid_dims
    .group_segment_fixed_size: 0
    .kernarg_segment_align: 8
    .kernarg_segment_size: 304
    .language:       OpenCL C
    .language_version:
      - 2
      - 0
    .max_flat_workgroup_size: 1024
    .name:           _ZN9rocsolver6v33100L10rot_kernelIffiEEvT1_PT0_S2_S4_S2_T_S5_
    .private_segment_fixed_size: 0
    .sgpr_count:     19
    .sgpr_spill_count: 0
    .symbol:         _ZN9rocsolver6v33100L10rot_kernelIffiEEvT1_PT0_S2_S4_S2_T_S5_.kd
    .uniform_work_group_size: 1
    .uses_dynamic_stack: false
    .vgpr_count:     11
    .vgpr_spill_count: 0
    .wavefront_size: 32
    .workgroup_processor_mode: 1
  - .args:
      - .offset:         0
        .size:           4
        .value_kind:     by_value
      - .offset:         4
        .size:           4
        .value_kind:     by_value
      - .offset:         8
        .size:           4
        .value_kind:     by_value
      - .offset:         12
        .size:           4
        .value_kind:     by_value
      - .offset:         16
        .size:           4
        .value_kind:     by_value
      - .address_space:  global
        .offset:         24
        .size:           8
        .value_kind:     global_buffer
      - .offset:         32
        .size:           8
        .value_kind:     by_value
      - .address_space:  global
        .offset:         40
        .size:           8
        .value_kind:     global_buffer
      - .offset:         48
        .size:           8
        .value_kind:     by_value
      - .address_space:  global
        .offset:         56
        .size:           8
        .value_kind:     global_buffer
      - .offset:         64
        .size:           8
        .value_kind:     by_value
      - .offset:         72
        .size:           4
        .value_kind:     by_value
      - .offset:         80
        .size:           8
        .value_kind:     by_value
      - .offset:         88
        .size:           4
        .value_kind:     by_value
      - .offset:         96
        .size:           4
        .value_kind:     hidden_block_count_x
      - .offset:         100
        .size:           4
        .value_kind:     hidden_block_count_y
      - .offset:         104
        .size:           4
        .value_kind:     hidden_block_count_z
      - .offset:         108
        .size:           2
        .value_kind:     hidden_group_size_x
      - .offset:         110
        .size:           2
        .value_kind:     hidden_group_size_y
      - .offset:         112
        .size:           2
        .value_kind:     hidden_group_size_z
      - .offset:         114
        .size:           2
        .value_kind:     hidden_remainder_x
      - .offset:         116
        .size:           2
        .value_kind:     hidden_remainder_y
      - .offset:         118
        .size:           2
        .value_kind:     hidden_remainder_z
      - .offset:         136
        .size:           8
        .value_kind:     hidden_global_offset_x
      - .offset:         144
        .size:           8
        .value_kind:     hidden_global_offset_y
      - .offset:         152
        .size:           8
        .value_kind:     hidden_global_offset_z
      - .offset:         160
        .size:           2
        .value_kind:     hidden_grid_dims
    .group_segment_fixed_size: 0
    .kernarg_segment_align: 8
    .kernarg_segment_size: 352
    .language:       OpenCL C
    .language_version:
      - 2
      - 0
    .max_flat_workgroup_size: 64
    .name:           _ZN9rocsolver6v33100L11lasr_kernelIffPfiEEv13rocblas_side_14rocblas_pivot_15rocblas_direct_T2_S6_PT0_lS8_lT1_lS6_lS6_
    .private_segment_fixed_size: 0
    .sgpr_count:     91
    .sgpr_spill_count: 0
    .symbol:         _ZN9rocsolver6v33100L11lasr_kernelIffPfiEEv13rocblas_side_14rocblas_pivot_15rocblas_direct_T2_S6_PT0_lS8_lT1_lS6_lS6_.kd
    .uniform_work_group_size: 1
    .uses_dynamic_stack: false
    .vgpr_count:     41
    .vgpr_spill_count: 0
    .wavefront_size: 32
    .workgroup_processor_mode: 1
  - .args:
      - .offset:         0
        .size:           4
        .value_kind:     by_value
      - .offset:         4
        .size:           4
        .value_kind:     by_value
      - .address_space:  global
        .offset:         8
        .size:           8
        .value_kind:     global_buffer
      - .offset:         16
        .size:           4
        .value_kind:     by_value
      - .offset:         24
        .size:           4
        .value_kind:     hidden_block_count_x
      - .offset:         28
        .size:           4
        .value_kind:     hidden_block_count_y
      - .offset:         32
        .size:           4
        .value_kind:     hidden_block_count_z
      - .offset:         36
        .size:           2
        .value_kind:     hidden_group_size_x
      - .offset:         38
        .size:           2
        .value_kind:     hidden_group_size_y
      - .offset:         40
        .size:           2
        .value_kind:     hidden_group_size_z
      - .offset:         42
        .size:           2
        .value_kind:     hidden_remainder_x
      - .offset:         44
        .size:           2
        .value_kind:     hidden_remainder_y
      - .offset:         46
        .size:           2
        .value_kind:     hidden_remainder_z
      - .offset:         64
        .size:           8
        .value_kind:     hidden_global_offset_x
      - .offset:         72
        .size:           8
        .value_kind:     hidden_global_offset_y
      - .offset:         80
        .size:           8
        .value_kind:     hidden_global_offset_z
      - .offset:         88
        .size:           2
        .value_kind:     hidden_grid_dims
    .group_segment_fixed_size: 0
    .kernarg_segment_align: 8
    .kernarg_segment_size: 280
    .language:       OpenCL C
    .language_version:
      - 2
      - 0
    .max_flat_workgroup_size: 1024
    .name:           _ZN9rocsolver6v33100L11scal_kernelIffiEEvT1_T_PT0_S2_
    .private_segment_fixed_size: 0
    .sgpr_count:     13
    .sgpr_spill_count: 0
    .symbol:         _ZN9rocsolver6v33100L11scal_kernelIffiEEvT1_T_PT0_S2_.kd
    .uniform_work_group_size: 1
    .uses_dynamic_stack: false
    .vgpr_count:     5
    .vgpr_spill_count: 0
    .wavefront_size: 32
    .workgroup_processor_mode: 1
  - .args:
      - .offset:         0
        .size:           4
        .value_kind:     by_value
      - .offset:         4
        .size:           4
        .value_kind:     by_value
      - .offset:         8
        .size:           4
        .value_kind:     by_value
      - .address_space:  global
        .offset:         16
        .size:           8
        .value_kind:     global_buffer
      - .offset:         24
        .size:           8
        .value_kind:     by_value
      - .address_space:  global
        .offset:         32
        .size:           8
        .value_kind:     global_buffer
      - .offset:         40
        .size:           8
        .value_kind:     by_value
      - .address_space:  global
        .offset:         48
        .size:           8
        .value_kind:     global_buffer
      - .offset:         56
        .size:           4
        .value_kind:     by_value
      - .offset:         60
        .size:           4
        .value_kind:     by_value
      - .offset:         64
        .size:           8
        .value_kind:     by_value
      - .address_space:  global
        .offset:         72
        .size:           8
        .value_kind:     global_buffer
      - .offset:         80
        .size:           4
        .value_kind:     by_value
      - .offset:         84
        .size:           4
        .value_kind:     by_value
      - .offset:         88
        .size:           8
        .value_kind:     by_value
      - .address_space:  global
        .offset:         96
        .size:           8
        .value_kind:     global_buffer
      - .address_space:  global
        .offset:         104
        .size:           8
        .value_kind:     global_buffer
      - .offset:         112
        .size:           8
        .value_kind:     by_value
      - .address_space:  global
        .offset:         120
        .size:           8
        .value_kind:     global_buffer
      - .offset:         128
        .size:           4
        .value_kind:     hidden_block_count_x
      - .offset:         132
        .size:           4
        .value_kind:     hidden_block_count_y
      - .offset:         136
        .size:           4
        .value_kind:     hidden_block_count_z
      - .offset:         140
        .size:           2
        .value_kind:     hidden_group_size_x
      - .offset:         142
        .size:           2
        .value_kind:     hidden_group_size_y
      - .offset:         144
        .size:           2
        .value_kind:     hidden_group_size_z
      - .offset:         146
        .size:           2
        .value_kind:     hidden_remainder_x
      - .offset:         148
        .size:           2
        .value_kind:     hidden_remainder_y
      - .offset:         150
        .size:           2
        .value_kind:     hidden_remainder_z
      - .offset:         168
        .size:           8
        .value_kind:     hidden_global_offset_x
      - .offset:         176
        .size:           8
        .value_kind:     hidden_global_offset_y
      - .offset:         184
        .size:           8
        .value_kind:     hidden_global_offset_z
      - .offset:         192
        .size:           2
        .value_kind:     hidden_grid_dims
    .group_segment_fixed_size: 0
    .kernarg_segment_align: 8
    .kernarg_segment_size: 384
    .language:       OpenCL C
    .language_version:
      - 2
      - 0
    .max_flat_workgroup_size: 1024
    .name:           _ZN9rocsolver6v33100L17bdsqr_lower2upperIffPfS2_EEviiiPT0_lS4_lT1_iilT2_iilPiS4_lS7_
    .private_segment_fixed_size: 0
    .sgpr_count:     38
    .sgpr_spill_count: 0
    .symbol:         _ZN9rocsolver6v33100L17bdsqr_lower2upperIffPfS2_EEviiiPT0_lS4_lT1_iilT2_iilPiS4_lS7_.kd
    .uniform_work_group_size: 1
    .uses_dynamic_stack: false
    .vgpr_count:     14
    .vgpr_spill_count: 0
    .wavefront_size: 32
    .workgroup_processor_mode: 1
  - .args:
      - .offset:         0
        .size:           4
        .value_kind:     by_value
      - .offset:         4
        .size:           4
        .value_kind:     by_value
      - .offset:         8
        .size:           4
        .value_kind:     by_value
      - .offset:         12
        .size:           4
        .value_kind:     by_value
      - .address_space:  global
        .offset:         16
        .size:           8
        .value_kind:     global_buffer
      - .offset:         24
        .size:           8
        .value_kind:     by_value
      - .address_space:  global
        .offset:         32
        .size:           8
        .value_kind:     global_buffer
      - .offset:         40
        .size:           8
        .value_kind:     by_value
      - .address_space:  global
        .offset:         48
        .size:           8
        .value_kind:     global_buffer
      - .offset:         56
        .size:           4
        .value_kind:     by_value
      - .offset:         60
        .size:           4
        .value_kind:     by_value
      - .offset:         64
        .size:           8
        .value_kind:     by_value
      - .address_space:  global
        .offset:         72
        .size:           8
        .value_kind:     global_buffer
      - .offset:         80
        .size:           4
        .value_kind:     by_value
      - .offset:         84
        .size:           4
        .value_kind:     by_value
      - .offset:         88
        .size:           8
        .value_kind:     by_value
      - .address_space:  global
        .offset:         96
        .size:           8
        .value_kind:     global_buffer
      - .offset:         104
        .size:           4
        .value_kind:     by_value
      - .offset:         108
        .size:           4
        .value_kind:     by_value
      - .offset:         112
        .size:           8
        .value_kind:     by_value
      - .offset:         120
        .size:           4
        .value_kind:     by_value
      - .offset:         124
        .size:           4
        .value_kind:     by_value
      - .offset:         128
        .size:           4
        .value_kind:     by_value
      - .offset:         132
        .size:           4
        .value_kind:     by_value
      - .offset:         136
        .size:           4
        .value_kind:     by_value
      - .address_space:  global
        .offset:         144
        .size:           8
        .value_kind:     global_buffer
      - .address_space:  global
        .offset:         152
        .size:           8
        .value_kind:     global_buffer
      - .offset:         160
        .size:           4
        .value_kind:     by_value
      - .offset:         168
        .size:           8
        .value_kind:     by_value
      - .address_space:  global
        .offset:         176
        .size:           8
        .value_kind:     global_buffer
      - .offset:         184
        .size:           4
        .value_kind:     hidden_block_count_x
      - .offset:         188
        .size:           4
        .value_kind:     hidden_block_count_y
      - .offset:         192
        .size:           4
        .value_kind:     hidden_block_count_z
      - .offset:         196
        .size:           2
        .value_kind:     hidden_group_size_x
      - .offset:         198
        .size:           2
        .value_kind:     hidden_group_size_y
      - .offset:         200
        .size:           2
        .value_kind:     hidden_group_size_z
      - .offset:         202
        .size:           2
        .value_kind:     hidden_remainder_x
      - .offset:         204
        .size:           2
        .value_kind:     hidden_remainder_y
      - .offset:         206
        .size:           2
        .value_kind:     hidden_remainder_z
      - .offset:         224
        .size:           8
        .value_kind:     hidden_global_offset_x
      - .offset:         232
        .size:           8
        .value_kind:     hidden_global_offset_y
      - .offset:         240
        .size:           8
        .value_kind:     hidden_global_offset_z
      - .offset:         248
        .size:           2
        .value_kind:     hidden_grid_dims
    .group_segment_fixed_size: 1040
    .kernarg_segment_align: 8
    .kernarg_segment_size: 440
    .language:       OpenCL C
    .language_version:
      - 2
      - 0
    .max_flat_workgroup_size: 1024
    .name:           _ZN9rocsolver6v33100L13bdsqr_computeILi256EffPfS2_S2_EEviiiiPT1_lS4_lT2_iilT3_iilT4_iiliS3_S3_S3_S3_PiS4_ilS8_
    .private_segment_fixed_size: 0
    .sgpr_count:     107
    .sgpr_spill_count: 7
    .symbol:         _ZN9rocsolver6v33100L13bdsqr_computeILi256EffPfS2_S2_EEviiiiPT1_lS4_lT2_iilT3_iilT4_iiliS3_S3_S3_S3_PiS4_ilS8_.kd
    .uniform_work_group_size: 1
    .uses_dynamic_stack: false
    .vgpr_count:     28
    .vgpr_spill_count: 0
    .wavefront_size: 32
    .workgroup_processor_mode: 1
  - .args:
      - .offset:         0
        .size:           4
        .value_kind:     by_value
      - .offset:         4
        .size:           4
        .value_kind:     by_value
      - .offset:         8
        .size:           4
        .value_kind:     by_value
      - .offset:         12
        .size:           4
        .value_kind:     by_value
      - .address_space:  global
        .offset:         16
        .size:           8
        .value_kind:     global_buffer
      - .offset:         24
        .size:           4
        .value_kind:     by_value
      - .offset:         28
        .size:           4
        .value_kind:     by_value
      - .offset:         32
        .size:           8
        .value_kind:     by_value
      - .address_space:  global
        .offset:         40
        .size:           8
        .value_kind:     global_buffer
      - .offset:         48
        .size:           4
        .value_kind:     by_value
      - .offset:         52
        .size:           4
        .value_kind:     by_value
      - .offset:         56
        .size:           8
        .value_kind:     by_value
      - .address_space:  global
        .offset:         64
        .size:           8
        .value_kind:     global_buffer
      - .offset:         72
        .size:           4
        .value_kind:     by_value
      - .offset:         76
        .size:           4
        .value_kind:     by_value
      - .offset:         80
        .size:           8
        .value_kind:     by_value
      - .offset:         88
        .size:           4
        .value_kind:     by_value
      - .address_space:  global
        .offset:         96
        .size:           8
        .value_kind:     global_buffer
      - .address_space:  global
        .offset:         104
        .size:           8
        .value_kind:     global_buffer
      - .offset:         112
        .size:           4
        .value_kind:     by_value
      - .offset:         120
        .size:           8
        .value_kind:     by_value
      - .address_space:  global
        .offset:         128
        .size:           8
        .value_kind:     global_buffer
      - .offset:         136
        .size:           4
        .value_kind:     hidden_block_count_x
      - .offset:         140
        .size:           4
        .value_kind:     hidden_block_count_y
      - .offset:         144
        .size:           4
        .value_kind:     hidden_block_count_z
      - .offset:         148
        .size:           2
        .value_kind:     hidden_group_size_x
      - .offset:         150
        .size:           2
        .value_kind:     hidden_group_size_y
      - .offset:         152
        .size:           2
        .value_kind:     hidden_group_size_z
      - .offset:         154
        .size:           2
        .value_kind:     hidden_remainder_x
      - .offset:         156
        .size:           2
        .value_kind:     hidden_remainder_y
      - .offset:         158
        .size:           2
        .value_kind:     hidden_remainder_z
      - .offset:         176
        .size:           8
        .value_kind:     hidden_global_offset_x
      - .offset:         184
        .size:           8
        .value_kind:     hidden_global_offset_y
      - .offset:         192
        .size:           8
        .value_kind:     hidden_global_offset_z
      - .offset:         200
        .size:           2
        .value_kind:     hidden_grid_dims
    .group_segment_fixed_size: 0
    .kernarg_segment_align: 8
    .kernarg_segment_size: 392
    .language:       OpenCL C
    .language_version:
      - 2
      - 0
    .max_flat_workgroup_size: 1024
    .name:           _ZN9rocsolver6v33100L12bdsqr_rotateIffPfS2_S2_EEviiiiT1_iilT2_iilT3_iiliPiPT0_ilS6_
    .private_segment_fixed_size: 0
    .sgpr_count:     48
    .sgpr_spill_count: 0
    .symbol:         _ZN9rocsolver6v33100L12bdsqr_rotateIffPfS2_S2_EEviiiiT1_iilT2_iilT3_iiliPiPT0_ilS6_.kd
    .uniform_work_group_size: 1
    .uses_dynamic_stack: false
    .vgpr_count:     17
    .vgpr_spill_count: 0
    .wavefront_size: 32
    .workgroup_processor_mode: 1
  - .args:
      - .offset:         0
        .size:           4
        .value_kind:     by_value
      - .address_space:  global
        .offset:         8
        .size:           8
        .value_kind:     global_buffer
      - .offset:         16
        .size:           8
        .value_kind:     by_value
      - .address_space:  global
        .offset:         24
        .size:           8
        .value_kind:     global_buffer
      - .address_space:  global
        .offset:         32
        .size:           8
        .value_kind:     global_buffer
      - .offset:         40
        .size:           8
        .value_kind:     by_value
      - .address_space:  global
        .offset:         48
        .size:           8
        .value_kind:     global_buffer
      - .offset:         56
        .size:           4
        .value_kind:     hidden_block_count_x
      - .offset:         60
        .size:           4
        .value_kind:     hidden_block_count_y
      - .offset:         64
        .size:           4
        .value_kind:     hidden_block_count_z
      - .offset:         68
        .size:           2
        .value_kind:     hidden_group_size_x
      - .offset:         70
        .size:           2
        .value_kind:     hidden_group_size_y
      - .offset:         72
        .size:           2
        .value_kind:     hidden_group_size_z
      - .offset:         74
        .size:           2
        .value_kind:     hidden_remainder_x
      - .offset:         76
        .size:           2
        .value_kind:     hidden_remainder_y
      - .offset:         78
        .size:           2
        .value_kind:     hidden_remainder_z
      - .offset:         96
        .size:           8
        .value_kind:     hidden_global_offset_x
      - .offset:         104
        .size:           8
        .value_kind:     hidden_global_offset_y
      - .offset:         112
        .size:           8
        .value_kind:     hidden_global_offset_z
      - .offset:         120
        .size:           2
        .value_kind:     hidden_grid_dims
    .group_segment_fixed_size: 0
    .kernarg_segment_align: 8
    .kernarg_segment_size: 312
    .language:       OpenCL C
    .language_version:
      - 2
      - 0
    .max_flat_workgroup_size: 1024
    .name:           _ZN9rocsolver6v33100L22bdsqr_update_endpointsIffEEviPT0_lPiS3_lS4_
    .private_segment_fixed_size: 0
    .sgpr_count:     25
    .sgpr_spill_count: 0
    .symbol:         _ZN9rocsolver6v33100L22bdsqr_update_endpointsIffEEviPT0_lPiS3_lS4_.kd
    .uniform_work_group_size: 1
    .uses_dynamic_stack: false
    .vgpr_count:     9
    .vgpr_spill_count: 0
    .wavefront_size: 32
    .workgroup_processor_mode: 1
  - .args:
      - .offset:         0
        .size:           4
        .value_kind:     by_value
      - .offset:         4
        .size:           4
        .value_kind:     by_value
      - .address_space:  global
        .offset:         8
        .size:           8
        .value_kind:     global_buffer
      - .address_space:  global
        .offset:         16
        .size:           8
        .value_kind:     global_buffer
      - .offset:         24
        .size:           8
        .value_kind:     by_value
      - .address_space:  global
        .offset:         32
        .size:           8
        .value_kind:     global_buffer
    .group_segment_fixed_size: 0
    .kernarg_segment_align: 8
    .kernarg_segment_size: 40
    .language:       OpenCL C
    .language_version:
      - 2
      - 0
    .max_flat_workgroup_size: 1024
    .name:           _ZN9rocsolver6v33100L19bdsqr_chk_completedIffEEviiPiPT0_lS2_
    .private_segment_fixed_size: 0
    .sgpr_count:     18
    .sgpr_spill_count: 0
    .symbol:         _ZN9rocsolver6v33100L19bdsqr_chk_completedIffEEviiPiPT0_lS2_.kd
    .uniform_work_group_size: 1
    .uses_dynamic_stack: false
    .vgpr_count:     4
    .vgpr_spill_count: 0
    .wavefront_size: 32
    .workgroup_processor_mode: 1
  - .args:
      - .offset:         0
        .size:           4
        .value_kind:     by_value
      - .offset:         4
        .size:           4
        .value_kind:     by_value
      - .offset:         8
        .size:           4
        .value_kind:     by_value
      - .offset:         12
        .size:           4
        .value_kind:     by_value
      - .address_space:  global
        .offset:         16
        .size:           8
        .value_kind:     global_buffer
      - .offset:         24
        .size:           8
        .value_kind:     by_value
      - .address_space:  global
        .offset:         32
        .size:           8
        .value_kind:     global_buffer
      - .offset:         40
        .size:           8
        .value_kind:     by_value
      - .address_space:  global
        .offset:         48
        .size:           8
        .value_kind:     global_buffer
      - .offset:         56
        .size:           4
        .value_kind:     by_value
      - .offset:         60
        .size:           4
        .value_kind:     by_value
      - .offset:         64
        .size:           8
        .value_kind:     by_value
      - .address_space:  global
        .offset:         72
        .size:           8
        .value_kind:     global_buffer
      - .offset:         80
        .size:           4
        .value_kind:     by_value
      - .offset:         84
        .size:           4
        .value_kind:     by_value
      - .offset:         88
        .size:           8
        .value_kind:     by_value
      - .address_space:  global
        .offset:         96
        .size:           8
        .value_kind:     global_buffer
      - .offset:         104
        .size:           4
        .value_kind:     by_value
      - .offset:         108
        .size:           4
        .value_kind:     by_value
      - .offset:         112
        .size:           8
        .value_kind:     by_value
      - .address_space:  global
        .offset:         120
        .size:           8
        .value_kind:     global_buffer
      - .address_space:  global
        .offset:         128
        .size:           8
        .value_kind:     global_buffer
      - .address_space:  global
        .offset:         136
        .size:           8
        .value_kind:     global_buffer
      - .offset:         144
        .size:           4
        .value_kind:     hidden_block_count_x
      - .offset:         148
        .size:           4
        .value_kind:     hidden_block_count_y
      - .offset:         152
        .size:           4
        .value_kind:     hidden_block_count_z
      - .offset:         156
        .size:           2
        .value_kind:     hidden_group_size_x
      - .offset:         158
        .size:           2
        .value_kind:     hidden_group_size_y
      - .offset:         160
        .size:           2
        .value_kind:     hidden_group_size_z
      - .offset:         162
        .size:           2
        .value_kind:     hidden_remainder_x
      - .offset:         164
        .size:           2
        .value_kind:     hidden_remainder_y
      - .offset:         166
        .size:           2
        .value_kind:     hidden_remainder_z
      - .offset:         184
        .size:           8
        .value_kind:     hidden_global_offset_x
      - .offset:         192
        .size:           8
        .value_kind:     hidden_global_offset_y
      - .offset:         200
        .size:           8
        .value_kind:     hidden_global_offset_z
      - .offset:         208
        .size:           2
        .value_kind:     hidden_grid_dims
      - .offset:         224
        .size:           8
        .value_kind:     hidden_hostcall_buffer
    .group_segment_fixed_size: 0
    .kernarg_segment_align: 8
    .kernarg_segment_size: 400
    .language:       OpenCL C
    .language_version:
      - 2
      - 0
    .max_flat_workgroup_size: 1024
    .name:           _ZN9rocsolver6v33100L14bdsqr_finalizeIffPfS2_S2_EEviiiiPT0_lS4_lT1_iilT2_iilT3_iilPiS8_S8_
    .private_segment_fixed_size: 64
    .sgpr_count:     66
    .sgpr_spill_count: 0
    .symbol:         _ZN9rocsolver6v33100L14bdsqr_finalizeIffPfS2_S2_EEviiiiPT0_lS4_lT1_iilT2_iilT3_iilPiS8_S8_.kd
    .uniform_work_group_size: 1
    .uses_dynamic_stack: false
    .vgpr_count:     44
    .vgpr_spill_count: 0
    .wavefront_size: 32
    .workgroup_processor_mode: 1
  - .args:
      - .offset:         0
        .size:           4
        .value_kind:     by_value
      - .address_space:  global
        .offset:         8
        .size:           8
        .value_kind:     global_buffer
      - .offset:         16
        .size:           8
        .value_kind:     by_value
      - .address_space:  global
        .offset:         24
        .size:           8
        .value_kind:     global_buffer
      - .offset:         32
        .size:           8
        .value_kind:     by_value
      - .address_space:  global
        .offset:         40
        .size:           8
        .value_kind:     global_buffer
      - .offset:         48
        .size:           4
        .value_kind:     by_value
      - .offset:         56
        .size:           8
        .value_kind:     by_value
      - .offset:         64
        .size:           8
        .value_kind:     by_value
      - .address_space:  global
        .offset:         72
        .size:           8
        .value_kind:     global_buffer
      - .address_space:  global
        .offset:         80
        .size:           8
        .value_kind:     global_buffer
      - .offset:         88
        .size:           8
        .value_kind:     by_value
      - .address_space:  global
        .offset:         96
        .size:           8
        .value_kind:     global_buffer
    .group_segment_fixed_size: 0
    .kernarg_segment_align: 8
    .kernarg_segment_size: 104
    .language:       OpenCL C
    .language_version:
      - 2
      - 0
    .max_flat_workgroup_size: 1024
    .name:           _ZN9rocsolver6v33100L10bdsqr_initIddEEviPT0_lS3_lPiiS2_S2_S4_S3_lS4_
    .private_segment_fixed_size: 0
    .sgpr_count:     36
    .sgpr_spill_count: 0
    .symbol:         _ZN9rocsolver6v33100L10bdsqr_initIddEEviPT0_lS3_lPiiS2_S2_S4_S3_lS4_.kd
    .uniform_work_group_size: 1
    .uses_dynamic_stack: false
    .vgpr_count:     14
    .vgpr_spill_count: 0
    .wavefront_size: 32
    .workgroup_processor_mode: 1
  - .args:
      - .offset:         0
        .size:           4
        .value_kind:     by_value
      - .address_space:  global
        .offset:         8
        .size:           8
        .value_kind:     global_buffer
      - .offset:         16
        .size:           4
        .value_kind:     by_value
      - .address_space:  global
        .offset:         24
        .size:           8
        .value_kind:     global_buffer
      - .offset:         32
        .size:           4
        .value_kind:     by_value
      - .offset:         40
        .size:           4
        .value_kind:     hidden_block_count_x
      - .offset:         44
        .size:           4
        .value_kind:     hidden_block_count_y
      - .offset:         48
        .size:           4
        .value_kind:     hidden_block_count_z
      - .offset:         52
        .size:           2
        .value_kind:     hidden_group_size_x
      - .offset:         54
        .size:           2
        .value_kind:     hidden_group_size_y
      - .offset:         56
        .size:           2
        .value_kind:     hidden_group_size_z
      - .offset:         58
        .size:           2
        .value_kind:     hidden_remainder_x
      - .offset:         60
        .size:           2
        .value_kind:     hidden_remainder_y
      - .offset:         62
        .size:           2
        .value_kind:     hidden_remainder_z
      - .offset:         80
        .size:           8
        .value_kind:     hidden_global_offset_x
      - .offset:         88
        .size:           8
        .value_kind:     hidden_global_offset_y
      - .offset:         96
        .size:           8
        .value_kind:     hidden_global_offset_z
      - .offset:         104
        .size:           2
        .value_kind:     hidden_grid_dims
    .group_segment_fixed_size: 0
    .kernarg_segment_align: 8
    .kernarg_segment_size: 296
    .language:       OpenCL C
    .language_version:
      - 2
      - 0
    .max_flat_workgroup_size: 1024
    .name:           _ZN9rocsolver6v33100L11swap_kernelIdiEEvT0_PT_S2_S4_S2_
    .private_segment_fixed_size: 0
    .sgpr_count:     16
    .sgpr_spill_count: 0
    .symbol:         _ZN9rocsolver6v33100L11swap_kernelIdiEEvT0_PT_S2_S4_S2_.kd
    .uniform_work_group_size: 1
    .uses_dynamic_stack: false
    .vgpr_count:     11
    .vgpr_spill_count: 0
    .wavefront_size: 32
    .workgroup_processor_mode: 1
  - .args:
      - .offset:         0
        .size:           4
        .value_kind:     by_value
      - .address_space:  global
        .offset:         8
        .size:           8
        .value_kind:     global_buffer
      - .offset:         16
        .size:           4
        .value_kind:     by_value
      - .address_space:  global
        .offset:         24
        .size:           8
        .value_kind:     global_buffer
      - .offset:         32
        .size:           4
        .value_kind:     by_value
      - .offset:         40
        .size:           8
        .value_kind:     by_value
      - .offset:         48
        .size:           8
        .value_kind:     by_value
      - .offset:         56
        .size:           4
        .value_kind:     hidden_block_count_x
      - .offset:         60
        .size:           4
        .value_kind:     hidden_block_count_y
      - .offset:         64
        .size:           4
        .value_kind:     hidden_block_count_z
      - .offset:         68
        .size:           2
        .value_kind:     hidden_group_size_x
      - .offset:         70
        .size:           2
        .value_kind:     hidden_group_size_y
      - .offset:         72
        .size:           2
        .value_kind:     hidden_group_size_z
      - .offset:         74
        .size:           2
        .value_kind:     hidden_remainder_x
      - .offset:         76
        .size:           2
        .value_kind:     hidden_remainder_y
      - .offset:         78
        .size:           2
        .value_kind:     hidden_remainder_z
      - .offset:         96
        .size:           8
        .value_kind:     hidden_global_offset_x
      - .offset:         104
        .size:           8
        .value_kind:     hidden_global_offset_y
      - .offset:         112
        .size:           8
        .value_kind:     hidden_global_offset_z
      - .offset:         120
        .size:           2
        .value_kind:     hidden_grid_dims
    .group_segment_fixed_size: 0
    .kernarg_segment_align: 8
    .kernarg_segment_size: 312
    .language:       OpenCL C
    .language_version:
      - 2
      - 0
    .max_flat_workgroup_size: 1024
    .name:           _ZN9rocsolver6v33100L10rot_kernelIddiEEvT1_PT0_S2_S4_S2_T_S5_
    .private_segment_fixed_size: 0
    .sgpr_count:     20
    .sgpr_spill_count: 0
    .symbol:         _ZN9rocsolver6v33100L10rot_kernelIddiEEvT1_PT0_S2_S4_S2_T_S5_.kd
    .uniform_work_group_size: 1
    .uses_dynamic_stack: false
    .vgpr_count:     15
    .vgpr_spill_count: 0
    .wavefront_size: 32
    .workgroup_processor_mode: 1
  - .args:
      - .offset:         0
        .size:           4
        .value_kind:     by_value
      - .offset:         4
        .size:           4
        .value_kind:     by_value
      - .offset:         8
        .size:           4
        .value_kind:     by_value
      - .offset:         12
        .size:           4
        .value_kind:     by_value
      - .offset:         16
        .size:           4
        .value_kind:     by_value
      - .address_space:  global
        .offset:         24
        .size:           8
        .value_kind:     global_buffer
      - .offset:         32
        .size:           8
        .value_kind:     by_value
      - .address_space:  global
        .offset:         40
        .size:           8
        .value_kind:     global_buffer
      - .offset:         48
        .size:           8
        .value_kind:     by_value
      - .address_space:  global
        .offset:         56
        .size:           8
        .value_kind:     global_buffer
      - .offset:         64
        .size:           8
        .value_kind:     by_value
      - .offset:         72
        .size:           4
        .value_kind:     by_value
      - .offset:         80
        .size:           8
        .value_kind:     by_value
      - .offset:         88
        .size:           4
        .value_kind:     by_value
      - .offset:         96
        .size:           4
        .value_kind:     hidden_block_count_x
      - .offset:         100
        .size:           4
        .value_kind:     hidden_block_count_y
      - .offset:         104
        .size:           4
        .value_kind:     hidden_block_count_z
      - .offset:         108
        .size:           2
        .value_kind:     hidden_group_size_x
      - .offset:         110
        .size:           2
        .value_kind:     hidden_group_size_y
      - .offset:         112
        .size:           2
        .value_kind:     hidden_group_size_z
      - .offset:         114
        .size:           2
        .value_kind:     hidden_remainder_x
      - .offset:         116
        .size:           2
        .value_kind:     hidden_remainder_y
      - .offset:         118
        .size:           2
        .value_kind:     hidden_remainder_z
      - .offset:         136
        .size:           8
        .value_kind:     hidden_global_offset_x
      - .offset:         144
        .size:           8
        .value_kind:     hidden_global_offset_y
      - .offset:         152
        .size:           8
        .value_kind:     hidden_global_offset_z
      - .offset:         160
        .size:           2
        .value_kind:     hidden_grid_dims
    .group_segment_fixed_size: 0
    .kernarg_segment_align: 8
    .kernarg_segment_size: 352
    .language:       OpenCL C
    .language_version:
      - 2
      - 0
    .max_flat_workgroup_size: 64
    .name:           _ZN9rocsolver6v33100L11lasr_kernelIddPdiEEv13rocblas_side_14rocblas_pivot_15rocblas_direct_T2_S6_PT0_lS8_lT1_lS6_lS6_
    .private_segment_fixed_size: 0
    .sgpr_count:     91
    .sgpr_spill_count: 0
    .symbol:         _ZN9rocsolver6v33100L11lasr_kernelIddPdiEEv13rocblas_side_14rocblas_pivot_15rocblas_direct_T2_S6_PT0_lS8_lT1_lS6_lS6_.kd
    .uniform_work_group_size: 1
    .uses_dynamic_stack: false
    .vgpr_count:     45
    .vgpr_spill_count: 0
    .wavefront_size: 32
    .workgroup_processor_mode: 1
  - .args:
      - .offset:         0
        .size:           4
        .value_kind:     by_value
      - .offset:         8
        .size:           8
        .value_kind:     by_value
      - .address_space:  global
        .offset:         16
        .size:           8
        .value_kind:     global_buffer
      - .offset:         24
        .size:           4
        .value_kind:     by_value
      - .offset:         32
        .size:           4
        .value_kind:     hidden_block_count_x
      - .offset:         36
        .size:           4
        .value_kind:     hidden_block_count_y
      - .offset:         40
        .size:           4
        .value_kind:     hidden_block_count_z
      - .offset:         44
        .size:           2
        .value_kind:     hidden_group_size_x
      - .offset:         46
        .size:           2
        .value_kind:     hidden_group_size_y
      - .offset:         48
        .size:           2
        .value_kind:     hidden_group_size_z
      - .offset:         50
        .size:           2
        .value_kind:     hidden_remainder_x
      - .offset:         52
        .size:           2
        .value_kind:     hidden_remainder_y
      - .offset:         54
        .size:           2
        .value_kind:     hidden_remainder_z
      - .offset:         72
        .size:           8
        .value_kind:     hidden_global_offset_x
      - .offset:         80
        .size:           8
        .value_kind:     hidden_global_offset_y
      - .offset:         88
        .size:           8
        .value_kind:     hidden_global_offset_z
      - .offset:         96
        .size:           2
        .value_kind:     hidden_grid_dims
    .group_segment_fixed_size: 0
    .kernarg_segment_align: 8
    .kernarg_segment_size: 288
    .language:       OpenCL C
    .language_version:
      - 2
      - 0
    .max_flat_workgroup_size: 1024
    .name:           _ZN9rocsolver6v33100L11scal_kernelIddiEEvT1_T_PT0_S2_
    .private_segment_fixed_size: 0
    .sgpr_count:     14
    .sgpr_spill_count: 0
    .symbol:         _ZN9rocsolver6v33100L11scal_kernelIddiEEvT1_T_PT0_S2_.kd
    .uniform_work_group_size: 1
    .uses_dynamic_stack: false
    .vgpr_count:     6
    .vgpr_spill_count: 0
    .wavefront_size: 32
    .workgroup_processor_mode: 1
  - .args:
      - .offset:         0
        .size:           4
        .value_kind:     by_value
      - .offset:         4
        .size:           4
        .value_kind:     by_value
      - .offset:         8
        .size:           4
        .value_kind:     by_value
      - .address_space:  global
        .offset:         16
        .size:           8
        .value_kind:     global_buffer
      - .offset:         24
        .size:           8
        .value_kind:     by_value
      - .address_space:  global
        .offset:         32
        .size:           8
        .value_kind:     global_buffer
      - .offset:         40
        .size:           8
        .value_kind:     by_value
      - .address_space:  global
        .offset:         48
        .size:           8
        .value_kind:     global_buffer
      - .offset:         56
        .size:           4
        .value_kind:     by_value
      - .offset:         60
        .size:           4
        .value_kind:     by_value
      - .offset:         64
        .size:           8
        .value_kind:     by_value
      - .address_space:  global
        .offset:         72
        .size:           8
        .value_kind:     global_buffer
      - .offset:         80
        .size:           4
        .value_kind:     by_value
      - .offset:         84
        .size:           4
        .value_kind:     by_value
      - .offset:         88
        .size:           8
        .value_kind:     by_value
      - .address_space:  global
        .offset:         96
        .size:           8
        .value_kind:     global_buffer
      - .address_space:  global
        .offset:         104
        .size:           8
        .value_kind:     global_buffer
      - .offset:         112
        .size:           8
        .value_kind:     by_value
      - .address_space:  global
        .offset:         120
        .size:           8
        .value_kind:     global_buffer
      - .offset:         128
        .size:           4
        .value_kind:     hidden_block_count_x
      - .offset:         132
        .size:           4
        .value_kind:     hidden_block_count_y
      - .offset:         136
        .size:           4
        .value_kind:     hidden_block_count_z
      - .offset:         140
        .size:           2
        .value_kind:     hidden_group_size_x
      - .offset:         142
        .size:           2
        .value_kind:     hidden_group_size_y
      - .offset:         144
        .size:           2
        .value_kind:     hidden_group_size_z
      - .offset:         146
        .size:           2
        .value_kind:     hidden_remainder_x
      - .offset:         148
        .size:           2
        .value_kind:     hidden_remainder_y
      - .offset:         150
        .size:           2
        .value_kind:     hidden_remainder_z
      - .offset:         168
        .size:           8
        .value_kind:     hidden_global_offset_x
      - .offset:         176
        .size:           8
        .value_kind:     hidden_global_offset_y
      - .offset:         184
        .size:           8
        .value_kind:     hidden_global_offset_z
      - .offset:         192
        .size:           2
        .value_kind:     hidden_grid_dims
    .group_segment_fixed_size: 0
    .kernarg_segment_align: 8
    .kernarg_segment_size: 384
    .language:       OpenCL C
    .language_version:
      - 2
      - 0
    .max_flat_workgroup_size: 1024
    .name:           _ZN9rocsolver6v33100L17bdsqr_lower2upperIddPdS2_EEviiiPT0_lS4_lT1_iilT2_iilPiS4_lS7_
    .private_segment_fixed_size: 0
    .sgpr_count:     40
    .sgpr_spill_count: 0
    .symbol:         _ZN9rocsolver6v33100L17bdsqr_lower2upperIddPdS2_EEviiiPT0_lS4_lT1_iilT2_iilPiS4_lS7_.kd
    .uniform_work_group_size: 1
    .uses_dynamic_stack: false
    .vgpr_count:     19
    .vgpr_spill_count: 0
    .wavefront_size: 32
    .workgroup_processor_mode: 1
  - .args:
      - .offset:         0
        .size:           4
        .value_kind:     by_value
      - .offset:         4
        .size:           4
        .value_kind:     by_value
      - .offset:         8
        .size:           4
        .value_kind:     by_value
      - .offset:         12
        .size:           4
        .value_kind:     by_value
      - .address_space:  global
        .offset:         16
        .size:           8
        .value_kind:     global_buffer
      - .offset:         24
        .size:           8
        .value_kind:     by_value
      - .address_space:  global
        .offset:         32
        .size:           8
        .value_kind:     global_buffer
      - .offset:         40
        .size:           8
        .value_kind:     by_value
      - .address_space:  global
        .offset:         48
        .size:           8
        .value_kind:     global_buffer
      - .offset:         56
        .size:           4
        .value_kind:     by_value
      - .offset:         60
        .size:           4
        .value_kind:     by_value
      - .offset:         64
        .size:           8
        .value_kind:     by_value
      - .address_space:  global
        .offset:         72
        .size:           8
        .value_kind:     global_buffer
      - .offset:         80
        .size:           4
        .value_kind:     by_value
      - .offset:         84
        .size:           4
        .value_kind:     by_value
      - .offset:         88
        .size:           8
        .value_kind:     by_value
      - .address_space:  global
        .offset:         96
        .size:           8
        .value_kind:     global_buffer
      - .offset:         104
        .size:           4
        .value_kind:     by_value
      - .offset:         108
        .size:           4
        .value_kind:     by_value
      - .offset:         112
        .size:           8
        .value_kind:     by_value
      - .offset:         120
        .size:           4
        .value_kind:     by_value
      - .offset:         128
        .size:           8
        .value_kind:     by_value
      - .offset:         136
        .size:           8
        .value_kind:     by_value
      - .offset:         144
        .size:           8
        .value_kind:     by_value
      - .offset:         152
        .size:           8
        .value_kind:     by_value
      - .address_space:  global
        .offset:         160
        .size:           8
        .value_kind:     global_buffer
      - .address_space:  global
        .offset:         168
        .size:           8
        .value_kind:     global_buffer
      - .offset:         176
        .size:           4
        .value_kind:     by_value
      - .offset:         184
        .size:           8
        .value_kind:     by_value
      - .address_space:  global
        .offset:         192
        .size:           8
        .value_kind:     global_buffer
      - .offset:         200
        .size:           4
        .value_kind:     hidden_block_count_x
      - .offset:         204
        .size:           4
        .value_kind:     hidden_block_count_y
      - .offset:         208
        .size:           4
        .value_kind:     hidden_block_count_z
      - .offset:         212
        .size:           2
        .value_kind:     hidden_group_size_x
      - .offset:         214
        .size:           2
        .value_kind:     hidden_group_size_y
      - .offset:         216
        .size:           2
        .value_kind:     hidden_group_size_z
      - .offset:         218
        .size:           2
        .value_kind:     hidden_remainder_x
      - .offset:         220
        .size:           2
        .value_kind:     hidden_remainder_y
      - .offset:         222
        .size:           2
        .value_kind:     hidden_remainder_z
      - .offset:         240
        .size:           8
        .value_kind:     hidden_global_offset_x
      - .offset:         248
        .size:           8
        .value_kind:     hidden_global_offset_y
      - .offset:         256
        .size:           8
        .value_kind:     hidden_global_offset_z
      - .offset:         264
        .size:           2
        .value_kind:     hidden_grid_dims
    .group_segment_fixed_size: 2072
    .kernarg_segment_align: 8
    .kernarg_segment_size: 456
    .language:       OpenCL C
    .language_version:
      - 2
      - 0
    .max_flat_workgroup_size: 1024
    .name:           _ZN9rocsolver6v33100L13bdsqr_computeILi256EddPdS2_S2_EEviiiiPT1_lS4_lT2_iilT3_iilT4_iiliS3_S3_S3_S3_PiS4_ilS8_
    .private_segment_fixed_size: 0
    .sgpr_count:     107
    .sgpr_spill_count: 9
    .symbol:         _ZN9rocsolver6v33100L13bdsqr_computeILi256EddPdS2_S2_EEviiiiPT1_lS4_lT2_iilT3_iilT4_iiliS3_S3_S3_S3_PiS4_ilS8_.kd
    .uniform_work_group_size: 1
    .uses_dynamic_stack: false
    .vgpr_count:     33
    .vgpr_spill_count: 0
    .wavefront_size: 32
    .workgroup_processor_mode: 1
  - .args:
      - .offset:         0
        .size:           4
        .value_kind:     by_value
      - .offset:         4
        .size:           4
        .value_kind:     by_value
      - .offset:         8
        .size:           4
        .value_kind:     by_value
      - .offset:         12
        .size:           4
        .value_kind:     by_value
      - .address_space:  global
        .offset:         16
        .size:           8
        .value_kind:     global_buffer
      - .offset:         24
        .size:           4
        .value_kind:     by_value
      - .offset:         28
        .size:           4
        .value_kind:     by_value
      - .offset:         32
        .size:           8
        .value_kind:     by_value
      - .address_space:  global
        .offset:         40
        .size:           8
        .value_kind:     global_buffer
      - .offset:         48
        .size:           4
        .value_kind:     by_value
      - .offset:         52
        .size:           4
        .value_kind:     by_value
      - .offset:         56
        .size:           8
        .value_kind:     by_value
      - .address_space:  global
        .offset:         64
        .size:           8
        .value_kind:     global_buffer
      - .offset:         72
        .size:           4
        .value_kind:     by_value
      - .offset:         76
        .size:           4
        .value_kind:     by_value
      - .offset:         80
        .size:           8
        .value_kind:     by_value
      - .offset:         88
        .size:           4
        .value_kind:     by_value
      - .address_space:  global
        .offset:         96
        .size:           8
        .value_kind:     global_buffer
      - .address_space:  global
        .offset:         104
        .size:           8
        .value_kind:     global_buffer
      - .offset:         112
        .size:           4
        .value_kind:     by_value
      - .offset:         120
        .size:           8
        .value_kind:     by_value
      - .address_space:  global
        .offset:         128
        .size:           8
        .value_kind:     global_buffer
      - .offset:         136
        .size:           4
        .value_kind:     hidden_block_count_x
      - .offset:         140
        .size:           4
        .value_kind:     hidden_block_count_y
      - .offset:         144
        .size:           4
        .value_kind:     hidden_block_count_z
      - .offset:         148
        .size:           2
        .value_kind:     hidden_group_size_x
      - .offset:         150
        .size:           2
        .value_kind:     hidden_group_size_y
      - .offset:         152
        .size:           2
        .value_kind:     hidden_group_size_z
      - .offset:         154
        .size:           2
        .value_kind:     hidden_remainder_x
      - .offset:         156
        .size:           2
        .value_kind:     hidden_remainder_y
      - .offset:         158
        .size:           2
        .value_kind:     hidden_remainder_z
      - .offset:         176
        .size:           8
        .value_kind:     hidden_global_offset_x
      - .offset:         184
        .size:           8
        .value_kind:     hidden_global_offset_y
      - .offset:         192
        .size:           8
        .value_kind:     hidden_global_offset_z
      - .offset:         200
        .size:           2
        .value_kind:     hidden_grid_dims
    .group_segment_fixed_size: 0
    .kernarg_segment_align: 8
    .kernarg_segment_size: 392
    .language:       OpenCL C
    .language_version:
      - 2
      - 0
    .max_flat_workgroup_size: 1024
    .name:           _ZN9rocsolver6v33100L12bdsqr_rotateIddPdS2_S2_EEviiiiT1_iilT2_iilT3_iiliPiPT0_ilS6_
    .private_segment_fixed_size: 0
    .sgpr_count:     48
    .sgpr_spill_count: 0
    .symbol:         _ZN9rocsolver6v33100L12bdsqr_rotateIddPdS2_S2_EEviiiiT1_iilT2_iilT3_iiliPiPT0_ilS6_.kd
    .uniform_work_group_size: 1
    .uses_dynamic_stack: false
    .vgpr_count:     21
    .vgpr_spill_count: 0
    .wavefront_size: 32
    .workgroup_processor_mode: 1
  - .args:
      - .offset:         0
        .size:           4
        .value_kind:     by_value
      - .address_space:  global
        .offset:         8
        .size:           8
        .value_kind:     global_buffer
      - .offset:         16
        .size:           8
        .value_kind:     by_value
      - .address_space:  global
        .offset:         24
        .size:           8
        .value_kind:     global_buffer
      - .address_space:  global
        .offset:         32
        .size:           8
        .value_kind:     global_buffer
      - .offset:         40
        .size:           8
        .value_kind:     by_value
      - .address_space:  global
        .offset:         48
        .size:           8
        .value_kind:     global_buffer
      - .offset:         56
        .size:           4
        .value_kind:     hidden_block_count_x
      - .offset:         60
        .size:           4
        .value_kind:     hidden_block_count_y
      - .offset:         64
        .size:           4
        .value_kind:     hidden_block_count_z
      - .offset:         68
        .size:           2
        .value_kind:     hidden_group_size_x
      - .offset:         70
        .size:           2
        .value_kind:     hidden_group_size_y
      - .offset:         72
        .size:           2
        .value_kind:     hidden_group_size_z
      - .offset:         74
        .size:           2
        .value_kind:     hidden_remainder_x
      - .offset:         76
        .size:           2
        .value_kind:     hidden_remainder_y
      - .offset:         78
        .size:           2
        .value_kind:     hidden_remainder_z
      - .offset:         96
        .size:           8
        .value_kind:     hidden_global_offset_x
      - .offset:         104
        .size:           8
        .value_kind:     hidden_global_offset_y
      - .offset:         112
        .size:           8
        .value_kind:     hidden_global_offset_z
      - .offset:         120
        .size:           2
        .value_kind:     hidden_grid_dims
    .group_segment_fixed_size: 0
    .kernarg_segment_align: 8
    .kernarg_segment_size: 312
    .language:       OpenCL C
    .language_version:
      - 2
      - 0
    .max_flat_workgroup_size: 1024
    .name:           _ZN9rocsolver6v33100L22bdsqr_update_endpointsIddEEviPT0_lPiS3_lS4_
    .private_segment_fixed_size: 0
    .sgpr_count:     26
    .sgpr_spill_count: 0
    .symbol:         _ZN9rocsolver6v33100L22bdsqr_update_endpointsIddEEviPT0_lPiS3_lS4_.kd
    .uniform_work_group_size: 1
    .uses_dynamic_stack: false
    .vgpr_count:     14
    .vgpr_spill_count: 0
    .wavefront_size: 32
    .workgroup_processor_mode: 1
  - .args:
      - .offset:         0
        .size:           4
        .value_kind:     by_value
      - .offset:         4
        .size:           4
        .value_kind:     by_value
      - .address_space:  global
        .offset:         8
        .size:           8
        .value_kind:     global_buffer
      - .address_space:  global
        .offset:         16
        .size:           8
        .value_kind:     global_buffer
      - .offset:         24
        .size:           8
        .value_kind:     by_value
      - .address_space:  global
        .offset:         32
        .size:           8
        .value_kind:     global_buffer
    .group_segment_fixed_size: 0
    .kernarg_segment_align: 8
    .kernarg_segment_size: 40
    .language:       OpenCL C
    .language_version:
      - 2
      - 0
    .max_flat_workgroup_size: 1024
    .name:           _ZN9rocsolver6v33100L19bdsqr_chk_completedIddEEviiPiPT0_lS2_
    .private_segment_fixed_size: 0
    .sgpr_count:     22
    .sgpr_spill_count: 0
    .symbol:         _ZN9rocsolver6v33100L19bdsqr_chk_completedIddEEviiPiPT0_lS2_.kd
    .uniform_work_group_size: 1
    .uses_dynamic_stack: false
    .vgpr_count:     6
    .vgpr_spill_count: 0
    .wavefront_size: 32
    .workgroup_processor_mode: 1
  - .args:
      - .offset:         0
        .size:           4
        .value_kind:     by_value
      - .offset:         4
        .size:           4
        .value_kind:     by_value
      - .offset:         8
        .size:           4
        .value_kind:     by_value
      - .offset:         12
        .size:           4
        .value_kind:     by_value
      - .address_space:  global
        .offset:         16
        .size:           8
        .value_kind:     global_buffer
      - .offset:         24
        .size:           8
        .value_kind:     by_value
      - .address_space:  global
        .offset:         32
        .size:           8
        .value_kind:     global_buffer
      - .offset:         40
        .size:           8
        .value_kind:     by_value
      - .address_space:  global
        .offset:         48
        .size:           8
        .value_kind:     global_buffer
      - .offset:         56
        .size:           4
        .value_kind:     by_value
      - .offset:         60
        .size:           4
        .value_kind:     by_value
      - .offset:         64
        .size:           8
        .value_kind:     by_value
      - .address_space:  global
        .offset:         72
        .size:           8
        .value_kind:     global_buffer
      - .offset:         80
        .size:           4
        .value_kind:     by_value
      - .offset:         84
        .size:           4
        .value_kind:     by_value
      - .offset:         88
        .size:           8
        .value_kind:     by_value
      - .address_space:  global
        .offset:         96
        .size:           8
        .value_kind:     global_buffer
      - .offset:         104
        .size:           4
        .value_kind:     by_value
      - .offset:         108
        .size:           4
        .value_kind:     by_value
      - .offset:         112
        .size:           8
        .value_kind:     by_value
      - .address_space:  global
        .offset:         120
        .size:           8
        .value_kind:     global_buffer
      - .address_space:  global
        .offset:         128
        .size:           8
        .value_kind:     global_buffer
      - .address_space:  global
        .offset:         136
        .size:           8
        .value_kind:     global_buffer
      - .offset:         144
        .size:           4
        .value_kind:     hidden_block_count_x
      - .offset:         148
        .size:           4
        .value_kind:     hidden_block_count_y
      - .offset:         152
        .size:           4
        .value_kind:     hidden_block_count_z
      - .offset:         156
        .size:           2
        .value_kind:     hidden_group_size_x
      - .offset:         158
        .size:           2
        .value_kind:     hidden_group_size_y
      - .offset:         160
        .size:           2
        .value_kind:     hidden_group_size_z
      - .offset:         162
        .size:           2
        .value_kind:     hidden_remainder_x
      - .offset:         164
        .size:           2
        .value_kind:     hidden_remainder_y
      - .offset:         166
        .size:           2
        .value_kind:     hidden_remainder_z
      - .offset:         184
        .size:           8
        .value_kind:     hidden_global_offset_x
      - .offset:         192
        .size:           8
        .value_kind:     hidden_global_offset_y
      - .offset:         200
        .size:           8
        .value_kind:     hidden_global_offset_z
      - .offset:         208
        .size:           2
        .value_kind:     hidden_grid_dims
      - .offset:         224
        .size:           8
        .value_kind:     hidden_hostcall_buffer
    .group_segment_fixed_size: 0
    .kernarg_segment_align: 8
    .kernarg_segment_size: 400
    .language:       OpenCL C
    .language_version:
      - 2
      - 0
    .max_flat_workgroup_size: 1024
    .name:           _ZN9rocsolver6v33100L14bdsqr_finalizeIddPdS2_S2_EEviiiiPT0_lS4_lT1_iilT2_iilT3_iilPiS8_S8_
    .private_segment_fixed_size: 64
    .sgpr_count:     66
    .sgpr_spill_count: 0
    .symbol:         _ZN9rocsolver6v33100L14bdsqr_finalizeIddPdS2_S2_EEviiiiPT0_lS4_lT1_iilT2_iilT3_iilPiS8_S8_.kd
    .uniform_work_group_size: 1
    .uses_dynamic_stack: false
    .vgpr_count:     44
    .vgpr_spill_count: 0
    .wavefront_size: 32
    .workgroup_processor_mode: 1
  - .args:
      - .offset:         0
        .size:           4
        .value_kind:     by_value
      - .address_space:  global
        .offset:         8
        .size:           8
        .value_kind:     global_buffer
      - .offset:         16
        .size:           8
        .value_kind:     by_value
      - .address_space:  global
        .offset:         24
        .size:           8
        .value_kind:     global_buffer
      - .offset:         32
        .size:           8
        .value_kind:     by_value
      - .address_space:  global
        .offset:         40
        .size:           8
        .value_kind:     global_buffer
      - .offset:         48
        .size:           4
        .value_kind:     by_value
      - .offset:         52
        .size:           4
        .value_kind:     by_value
      - .offset:         56
        .size:           4
        .value_kind:     by_value
      - .address_space:  global
        .offset:         64
        .size:           8
        .value_kind:     global_buffer
      - .address_space:  global
        .offset:         72
        .size:           8
        .value_kind:     global_buffer
      - .offset:         80
        .size:           8
        .value_kind:     by_value
      - .address_space:  global
        .offset:         88
        .size:           8
        .value_kind:     global_buffer
    .group_segment_fixed_size: 0
    .kernarg_segment_align: 8
    .kernarg_segment_size: 96
    .language:       OpenCL C
    .language_version:
      - 2
      - 0
    .max_flat_workgroup_size: 1024
    .name:           _ZN9rocsolver6v33100L10bdsqr_initI19rocblas_complex_numIfEfEEviPT0_lS5_lPiiS4_S4_S6_S5_lS6_
    .private_segment_fixed_size: 0
    .sgpr_count:     42
    .sgpr_spill_count: 0
    .symbol:         _ZN9rocsolver6v33100L10bdsqr_initI19rocblas_complex_numIfEfEEviPT0_lS5_lPiiS4_S4_S6_S5_lS6_.kd
    .uniform_work_group_size: 1
    .uses_dynamic_stack: false
    .vgpr_count:     10
    .vgpr_spill_count: 0
    .wavefront_size: 32
    .workgroup_processor_mode: 1
  - .args:
      - .offset:         0
        .size:           4
        .value_kind:     by_value
      - .address_space:  global
        .offset:         8
        .size:           8
        .value_kind:     global_buffer
      - .offset:         16
        .size:           4
        .value_kind:     by_value
      - .address_space:  global
        .offset:         24
        .size:           8
        .value_kind:     global_buffer
      - .offset:         32
        .size:           4
        .value_kind:     by_value
      - .offset:         40
        .size:           4
        .value_kind:     hidden_block_count_x
      - .offset:         44
        .size:           4
        .value_kind:     hidden_block_count_y
      - .offset:         48
        .size:           4
        .value_kind:     hidden_block_count_z
      - .offset:         52
        .size:           2
        .value_kind:     hidden_group_size_x
      - .offset:         54
        .size:           2
        .value_kind:     hidden_group_size_y
      - .offset:         56
        .size:           2
        .value_kind:     hidden_group_size_z
      - .offset:         58
        .size:           2
        .value_kind:     hidden_remainder_x
      - .offset:         60
        .size:           2
        .value_kind:     hidden_remainder_y
      - .offset:         62
        .size:           2
        .value_kind:     hidden_remainder_z
      - .offset:         80
        .size:           8
        .value_kind:     hidden_global_offset_x
      - .offset:         88
        .size:           8
        .value_kind:     hidden_global_offset_y
      - .offset:         96
        .size:           8
        .value_kind:     hidden_global_offset_z
      - .offset:         104
        .size:           2
        .value_kind:     hidden_grid_dims
    .group_segment_fixed_size: 0
    .kernarg_segment_align: 8
    .kernarg_segment_size: 296
    .language:       OpenCL C
    .language_version:
      - 2
      - 0
    .max_flat_workgroup_size: 1024
    .name:           _ZN9rocsolver6v33100L11swap_kernelI19rocblas_complex_numIfEiEEvT0_PT_S4_S6_S4_
    .private_segment_fixed_size: 0
    .sgpr_count:     16
    .sgpr_spill_count: 0
    .symbol:         _ZN9rocsolver6v33100L11swap_kernelI19rocblas_complex_numIfEiEEvT0_PT_S4_S6_S4_.kd
    .uniform_work_group_size: 1
    .uses_dynamic_stack: false
    .vgpr_count:     11
    .vgpr_spill_count: 0
    .wavefront_size: 32
    .workgroup_processor_mode: 1
  - .args:
      - .offset:         0
        .size:           4
        .value_kind:     by_value
      - .address_space:  global
        .offset:         8
        .size:           8
        .value_kind:     global_buffer
      - .offset:         16
        .size:           4
        .value_kind:     by_value
      - .address_space:  global
        .offset:         24
        .size:           8
        .value_kind:     global_buffer
      - .offset:         32
        .size:           4
        .value_kind:     by_value
      - .offset:         36
        .size:           4
        .value_kind:     by_value
      - .offset:         40
        .size:           4
        .value_kind:     by_value
      - .offset:         48
        .size:           4
        .value_kind:     hidden_block_count_x
      - .offset:         52
        .size:           4
        .value_kind:     hidden_block_count_y
      - .offset:         56
        .size:           4
        .value_kind:     hidden_block_count_z
      - .offset:         60
        .size:           2
        .value_kind:     hidden_group_size_x
      - .offset:         62
        .size:           2
        .value_kind:     hidden_group_size_y
      - .offset:         64
        .size:           2
        .value_kind:     hidden_group_size_z
      - .offset:         66
        .size:           2
        .value_kind:     hidden_remainder_x
      - .offset:         68
        .size:           2
        .value_kind:     hidden_remainder_y
      - .offset:         70
        .size:           2
        .value_kind:     hidden_remainder_z
      - .offset:         88
        .size:           8
        .value_kind:     hidden_global_offset_x
      - .offset:         96
        .size:           8
        .value_kind:     hidden_global_offset_y
      - .offset:         104
        .size:           8
        .value_kind:     hidden_global_offset_z
      - .offset:         112
        .size:           2
        .value_kind:     hidden_grid_dims
    .group_segment_fixed_size: 0
    .kernarg_segment_align: 8
    .kernarg_segment_size: 304
    .language:       OpenCL C
    .language_version:
      - 2
      - 0
    .max_flat_workgroup_size: 1024
    .name:           _ZN9rocsolver6v33100L10rot_kernelIf19rocblas_complex_numIfEiEEvT1_PT0_S4_S6_S4_T_S7_
    .private_segment_fixed_size: 0
    .sgpr_count:     19
    .sgpr_spill_count: 0
    .symbol:         _ZN9rocsolver6v33100L10rot_kernelIf19rocblas_complex_numIfEiEEvT1_PT0_S4_S6_S4_T_S7_.kd
    .uniform_work_group_size: 1
    .uses_dynamic_stack: false
    .vgpr_count:     15
    .vgpr_spill_count: 0
    .wavefront_size: 32
    .workgroup_processor_mode: 1
  - .args:
      - .offset:         0
        .size:           4
        .value_kind:     by_value
      - .offset:         4
        .size:           4
        .value_kind:     by_value
      - .offset:         8
        .size:           4
        .value_kind:     by_value
      - .offset:         12
        .size:           4
        .value_kind:     by_value
      - .offset:         16
        .size:           4
        .value_kind:     by_value
      - .address_space:  global
        .offset:         24
        .size:           8
        .value_kind:     global_buffer
      - .offset:         32
        .size:           8
        .value_kind:     by_value
      - .address_space:  global
        .offset:         40
        .size:           8
        .value_kind:     global_buffer
      - .offset:         48
        .size:           8
        .value_kind:     by_value
      - .address_space:  global
        .offset:         56
        .size:           8
        .value_kind:     global_buffer
      - .offset:         64
        .size:           8
        .value_kind:     by_value
      - .offset:         72
        .size:           4
        .value_kind:     by_value
      - .offset:         80
        .size:           8
        .value_kind:     by_value
      - .offset:         88
        .size:           4
        .value_kind:     by_value
      - .offset:         96
        .size:           4
        .value_kind:     hidden_block_count_x
      - .offset:         100
        .size:           4
        .value_kind:     hidden_block_count_y
      - .offset:         104
        .size:           4
        .value_kind:     hidden_block_count_z
      - .offset:         108
        .size:           2
        .value_kind:     hidden_group_size_x
      - .offset:         110
        .size:           2
        .value_kind:     hidden_group_size_y
      - .offset:         112
        .size:           2
        .value_kind:     hidden_group_size_z
      - .offset:         114
        .size:           2
        .value_kind:     hidden_remainder_x
      - .offset:         116
        .size:           2
        .value_kind:     hidden_remainder_y
      - .offset:         118
        .size:           2
        .value_kind:     hidden_remainder_z
      - .offset:         136
        .size:           8
        .value_kind:     hidden_global_offset_x
      - .offset:         144
        .size:           8
        .value_kind:     hidden_global_offset_y
      - .offset:         152
        .size:           8
        .value_kind:     hidden_global_offset_z
      - .offset:         160
        .size:           2
        .value_kind:     hidden_grid_dims
    .group_segment_fixed_size: 0
    .kernarg_segment_align: 8
    .kernarg_segment_size: 352
    .language:       OpenCL C
    .language_version:
      - 2
      - 0
    .max_flat_workgroup_size: 64
    .name:           _ZN9rocsolver6v33100L11lasr_kernelI19rocblas_complex_numIfEfPS3_iEEv13rocblas_side_14rocblas_pivot_15rocblas_direct_T2_S8_PT0_lSA_lT1_lS8_lS8_
    .private_segment_fixed_size: 0
    .sgpr_count:     91
    .sgpr_spill_count: 0
    .symbol:         _ZN9rocsolver6v33100L11lasr_kernelI19rocblas_complex_numIfEfPS3_iEEv13rocblas_side_14rocblas_pivot_15rocblas_direct_T2_S8_PT0_lSA_lT1_lS8_lS8_.kd
    .uniform_work_group_size: 1
    .uses_dynamic_stack: false
    .vgpr_count:     45
    .vgpr_spill_count: 0
    .wavefront_size: 32
    .workgroup_processor_mode: 1
  - .args:
      - .offset:         0
        .size:           4
        .value_kind:     by_value
      - .offset:         4
        .size:           4
        .value_kind:     by_value
      - .address_space:  global
        .offset:         8
        .size:           8
        .value_kind:     global_buffer
      - .offset:         16
        .size:           4
        .value_kind:     by_value
      - .offset:         24
        .size:           4
        .value_kind:     hidden_block_count_x
      - .offset:         28
        .size:           4
        .value_kind:     hidden_block_count_y
      - .offset:         32
        .size:           4
        .value_kind:     hidden_block_count_z
      - .offset:         36
        .size:           2
        .value_kind:     hidden_group_size_x
      - .offset:         38
        .size:           2
        .value_kind:     hidden_group_size_y
      - .offset:         40
        .size:           2
        .value_kind:     hidden_group_size_z
      - .offset:         42
        .size:           2
        .value_kind:     hidden_remainder_x
      - .offset:         44
        .size:           2
        .value_kind:     hidden_remainder_y
      - .offset:         46
        .size:           2
        .value_kind:     hidden_remainder_z
      - .offset:         64
        .size:           8
        .value_kind:     hidden_global_offset_x
      - .offset:         72
        .size:           8
        .value_kind:     hidden_global_offset_y
      - .offset:         80
        .size:           8
        .value_kind:     hidden_global_offset_z
      - .offset:         88
        .size:           2
        .value_kind:     hidden_grid_dims
    .group_segment_fixed_size: 0
    .kernarg_segment_align: 8
    .kernarg_segment_size: 280
    .language:       OpenCL C
    .language_version:
      - 2
      - 0
    .max_flat_workgroup_size: 1024
    .name:           _ZN9rocsolver6v33100L11scal_kernelIf19rocblas_complex_numIfEiEEvT1_T_PT0_S4_
    .private_segment_fixed_size: 0
    .sgpr_count:     13
    .sgpr_spill_count: 0
    .symbol:         _ZN9rocsolver6v33100L11scal_kernelIf19rocblas_complex_numIfEiEEvT1_T_PT0_S4_.kd
    .uniform_work_group_size: 1
    .uses_dynamic_stack: false
    .vgpr_count:     6
    .vgpr_spill_count: 0
    .wavefront_size: 32
    .workgroup_processor_mode: 1
  - .args:
      - .offset:         0
        .size:           4
        .value_kind:     by_value
      - .offset:         4
        .size:           4
        .value_kind:     by_value
      - .offset:         8
        .size:           4
        .value_kind:     by_value
      - .address_space:  global
        .offset:         16
        .size:           8
        .value_kind:     global_buffer
      - .offset:         24
        .size:           8
        .value_kind:     by_value
      - .address_space:  global
        .offset:         32
        .size:           8
        .value_kind:     global_buffer
      - .offset:         40
        .size:           8
        .value_kind:     by_value
      - .address_space:  global
        .offset:         48
        .size:           8
        .value_kind:     global_buffer
      - .offset:         56
        .size:           4
        .value_kind:     by_value
      - .offset:         60
        .size:           4
        .value_kind:     by_value
      - .offset:         64
        .size:           8
        .value_kind:     by_value
      - .address_space:  global
        .offset:         72
        .size:           8
        .value_kind:     global_buffer
      - .offset:         80
        .size:           4
        .value_kind:     by_value
      - .offset:         84
        .size:           4
        .value_kind:     by_value
      - .offset:         88
        .size:           8
        .value_kind:     by_value
      - .address_space:  global
        .offset:         96
        .size:           8
        .value_kind:     global_buffer
      - .address_space:  global
        .offset:         104
        .size:           8
        .value_kind:     global_buffer
      - .offset:         112
        .size:           8
        .value_kind:     by_value
      - .address_space:  global
        .offset:         120
        .size:           8
        .value_kind:     global_buffer
      - .offset:         128
        .size:           4
        .value_kind:     hidden_block_count_x
      - .offset:         132
        .size:           4
        .value_kind:     hidden_block_count_y
      - .offset:         136
        .size:           4
        .value_kind:     hidden_block_count_z
      - .offset:         140
        .size:           2
        .value_kind:     hidden_group_size_x
      - .offset:         142
        .size:           2
        .value_kind:     hidden_group_size_y
      - .offset:         144
        .size:           2
        .value_kind:     hidden_group_size_z
      - .offset:         146
        .size:           2
        .value_kind:     hidden_remainder_x
      - .offset:         148
        .size:           2
        .value_kind:     hidden_remainder_y
      - .offset:         150
        .size:           2
        .value_kind:     hidden_remainder_z
      - .offset:         168
        .size:           8
        .value_kind:     hidden_global_offset_x
      - .offset:         176
        .size:           8
        .value_kind:     hidden_global_offset_y
      - .offset:         184
        .size:           8
        .value_kind:     hidden_global_offset_z
      - .offset:         192
        .size:           2
        .value_kind:     hidden_grid_dims
    .group_segment_fixed_size: 0
    .kernarg_segment_align: 8
    .kernarg_segment_size: 384
    .language:       OpenCL C
    .language_version:
      - 2
      - 0
    .max_flat_workgroup_size: 1024
    .name:           _ZN9rocsolver6v33100L17bdsqr_lower2upperI19rocblas_complex_numIfEfPS3_S4_EEviiiPT0_lS6_lT1_iilT2_iilPiS6_lS9_
    .private_segment_fixed_size: 0
    .sgpr_count:     38
    .sgpr_spill_count: 0
    .symbol:         _ZN9rocsolver6v33100L17bdsqr_lower2upperI19rocblas_complex_numIfEfPS3_S4_EEviiiPT0_lS6_lT1_iilT2_iilPiS6_lS9_.kd
    .uniform_work_group_size: 1
    .uses_dynamic_stack: false
    .vgpr_count:     17
    .vgpr_spill_count: 0
    .wavefront_size: 32
    .workgroup_processor_mode: 1
  - .args:
      - .offset:         0
        .size:           4
        .value_kind:     by_value
      - .offset:         4
        .size:           4
        .value_kind:     by_value
      - .offset:         8
        .size:           4
        .value_kind:     by_value
      - .offset:         12
        .size:           4
        .value_kind:     by_value
      - .address_space:  global
        .offset:         16
        .size:           8
        .value_kind:     global_buffer
      - .offset:         24
        .size:           8
        .value_kind:     by_value
      - .address_space:  global
        .offset:         32
        .size:           8
        .value_kind:     global_buffer
      - .offset:         40
        .size:           8
        .value_kind:     by_value
      - .address_space:  global
        .offset:         48
        .size:           8
        .value_kind:     global_buffer
      - .offset:         56
        .size:           4
        .value_kind:     by_value
      - .offset:         60
        .size:           4
        .value_kind:     by_value
      - .offset:         64
        .size:           8
        .value_kind:     by_value
      - .address_space:  global
        .offset:         72
        .size:           8
        .value_kind:     global_buffer
      - .offset:         80
        .size:           4
        .value_kind:     by_value
      - .offset:         84
        .size:           4
        .value_kind:     by_value
      - .offset:         88
        .size:           8
        .value_kind:     by_value
      - .address_space:  global
        .offset:         96
        .size:           8
        .value_kind:     global_buffer
      - .offset:         104
        .size:           4
        .value_kind:     by_value
      - .offset:         108
        .size:           4
        .value_kind:     by_value
      - .offset:         112
        .size:           8
        .value_kind:     by_value
      - .offset:         120
        .size:           4
        .value_kind:     by_value
      - .offset:         124
        .size:           4
        .value_kind:     by_value
      - .offset:         128
        .size:           4
        .value_kind:     by_value
      - .offset:         132
        .size:           4
        .value_kind:     by_value
      - .offset:         136
        .size:           4
        .value_kind:     by_value
      - .address_space:  global
        .offset:         144
        .size:           8
        .value_kind:     global_buffer
      - .address_space:  global
        .offset:         152
        .size:           8
        .value_kind:     global_buffer
      - .offset:         160
        .size:           4
        .value_kind:     by_value
      - .offset:         168
        .size:           8
        .value_kind:     by_value
      - .address_space:  global
        .offset:         176
        .size:           8
        .value_kind:     global_buffer
      - .offset:         184
        .size:           4
        .value_kind:     hidden_block_count_x
      - .offset:         188
        .size:           4
        .value_kind:     hidden_block_count_y
      - .offset:         192
        .size:           4
        .value_kind:     hidden_block_count_z
      - .offset:         196
        .size:           2
        .value_kind:     hidden_group_size_x
      - .offset:         198
        .size:           2
        .value_kind:     hidden_group_size_y
      - .offset:         200
        .size:           2
        .value_kind:     hidden_group_size_z
      - .offset:         202
        .size:           2
        .value_kind:     hidden_remainder_x
      - .offset:         204
        .size:           2
        .value_kind:     hidden_remainder_y
      - .offset:         206
        .size:           2
        .value_kind:     hidden_remainder_z
      - .offset:         224
        .size:           8
        .value_kind:     hidden_global_offset_x
      - .offset:         232
        .size:           8
        .value_kind:     hidden_global_offset_y
      - .offset:         240
        .size:           8
        .value_kind:     hidden_global_offset_z
      - .offset:         248
        .size:           2
        .value_kind:     hidden_grid_dims
    .group_segment_fixed_size: 1040
    .kernarg_segment_align: 8
    .kernarg_segment_size: 440
    .language:       OpenCL C
    .language_version:
      - 2
      - 0
    .max_flat_workgroup_size: 1024
    .name:           _ZN9rocsolver6v33100L13bdsqr_computeILi256E19rocblas_complex_numIfEfPS3_S4_S4_EEviiiiPT1_lS6_lT2_iilT3_iilT4_iiliS5_S5_S5_S5_PiS6_ilSA_
    .private_segment_fixed_size: 0
    .sgpr_count:     107
    .sgpr_spill_count: 8
    .symbol:         _ZN9rocsolver6v33100L13bdsqr_computeILi256E19rocblas_complex_numIfEfPS3_S4_S4_EEviiiiPT1_lS6_lT2_iilT3_iilT4_iiliS5_S5_S5_S5_PiS6_ilSA_.kd
    .uniform_work_group_size: 1
    .uses_dynamic_stack: false
    .vgpr_count:     29
    .vgpr_spill_count: 0
    .wavefront_size: 32
    .workgroup_processor_mode: 1
  - .args:
      - .offset:         0
        .size:           4
        .value_kind:     by_value
      - .offset:         4
        .size:           4
        .value_kind:     by_value
      - .offset:         8
        .size:           4
        .value_kind:     by_value
      - .offset:         12
        .size:           4
        .value_kind:     by_value
      - .address_space:  global
        .offset:         16
        .size:           8
        .value_kind:     global_buffer
      - .offset:         24
        .size:           4
        .value_kind:     by_value
      - .offset:         28
        .size:           4
        .value_kind:     by_value
      - .offset:         32
        .size:           8
        .value_kind:     by_value
      - .address_space:  global
        .offset:         40
        .size:           8
        .value_kind:     global_buffer
      - .offset:         48
        .size:           4
        .value_kind:     by_value
      - .offset:         52
        .size:           4
        .value_kind:     by_value
      - .offset:         56
        .size:           8
        .value_kind:     by_value
      - .address_space:  global
        .offset:         64
        .size:           8
        .value_kind:     global_buffer
      - .offset:         72
        .size:           4
        .value_kind:     by_value
      - .offset:         76
        .size:           4
        .value_kind:     by_value
      - .offset:         80
        .size:           8
        .value_kind:     by_value
      - .offset:         88
        .size:           4
        .value_kind:     by_value
      - .address_space:  global
        .offset:         96
        .size:           8
        .value_kind:     global_buffer
      - .address_space:  global
        .offset:         104
        .size:           8
        .value_kind:     global_buffer
      - .offset:         112
        .size:           4
        .value_kind:     by_value
      - .offset:         120
        .size:           8
        .value_kind:     by_value
      - .address_space:  global
        .offset:         128
        .size:           8
        .value_kind:     global_buffer
      - .offset:         136
        .size:           4
        .value_kind:     hidden_block_count_x
      - .offset:         140
        .size:           4
        .value_kind:     hidden_block_count_y
      - .offset:         144
        .size:           4
        .value_kind:     hidden_block_count_z
      - .offset:         148
        .size:           2
        .value_kind:     hidden_group_size_x
      - .offset:         150
        .size:           2
        .value_kind:     hidden_group_size_y
      - .offset:         152
        .size:           2
        .value_kind:     hidden_group_size_z
      - .offset:         154
        .size:           2
        .value_kind:     hidden_remainder_x
      - .offset:         156
        .size:           2
        .value_kind:     hidden_remainder_y
      - .offset:         158
        .size:           2
        .value_kind:     hidden_remainder_z
      - .offset:         176
        .size:           8
        .value_kind:     hidden_global_offset_x
      - .offset:         184
        .size:           8
        .value_kind:     hidden_global_offset_y
      - .offset:         192
        .size:           8
        .value_kind:     hidden_global_offset_z
      - .offset:         200
        .size:           2
        .value_kind:     hidden_grid_dims
    .group_segment_fixed_size: 0
    .kernarg_segment_align: 8
    .kernarg_segment_size: 392
    .language:       OpenCL C
    .language_version:
      - 2
      - 0
    .max_flat_workgroup_size: 1024
    .name:           _ZN9rocsolver6v33100L12bdsqr_rotateI19rocblas_complex_numIfEfPS3_S4_S4_EEviiiiT1_iilT2_iilT3_iiliPiPT0_ilS8_
    .private_segment_fixed_size: 0
    .sgpr_count:     44
    .sgpr_spill_count: 0
    .symbol:         _ZN9rocsolver6v33100L12bdsqr_rotateI19rocblas_complex_numIfEfPS3_S4_S4_EEviiiiT1_iilT2_iilT3_iiliPiPT0_ilS8_.kd
    .uniform_work_group_size: 1
    .uses_dynamic_stack: false
    .vgpr_count:     19
    .vgpr_spill_count: 0
    .wavefront_size: 32
    .workgroup_processor_mode: 1
  - .args:
      - .offset:         0
        .size:           4
        .value_kind:     by_value
      - .address_space:  global
        .offset:         8
        .size:           8
        .value_kind:     global_buffer
      - .offset:         16
        .size:           8
        .value_kind:     by_value
      - .address_space:  global
        .offset:         24
        .size:           8
        .value_kind:     global_buffer
      - .address_space:  global
        .offset:         32
        .size:           8
        .value_kind:     global_buffer
      - .offset:         40
        .size:           8
        .value_kind:     by_value
      - .address_space:  global
        .offset:         48
        .size:           8
        .value_kind:     global_buffer
      - .offset:         56
        .size:           4
        .value_kind:     hidden_block_count_x
      - .offset:         60
        .size:           4
        .value_kind:     hidden_block_count_y
      - .offset:         64
        .size:           4
        .value_kind:     hidden_block_count_z
      - .offset:         68
        .size:           2
        .value_kind:     hidden_group_size_x
      - .offset:         70
        .size:           2
        .value_kind:     hidden_group_size_y
      - .offset:         72
        .size:           2
        .value_kind:     hidden_group_size_z
      - .offset:         74
        .size:           2
        .value_kind:     hidden_remainder_x
      - .offset:         76
        .size:           2
        .value_kind:     hidden_remainder_y
      - .offset:         78
        .size:           2
        .value_kind:     hidden_remainder_z
      - .offset:         96
        .size:           8
        .value_kind:     hidden_global_offset_x
      - .offset:         104
        .size:           8
        .value_kind:     hidden_global_offset_y
      - .offset:         112
        .size:           8
        .value_kind:     hidden_global_offset_z
      - .offset:         120
        .size:           2
        .value_kind:     hidden_grid_dims
    .group_segment_fixed_size: 0
    .kernarg_segment_align: 8
    .kernarg_segment_size: 312
    .language:       OpenCL C
    .language_version:
      - 2
      - 0
    .max_flat_workgroup_size: 1024
    .name:           _ZN9rocsolver6v33100L22bdsqr_update_endpointsI19rocblas_complex_numIfEfEEviPT0_lPiS5_lS6_
    .private_segment_fixed_size: 0
    .sgpr_count:     25
    .sgpr_spill_count: 0
    .symbol:         _ZN9rocsolver6v33100L22bdsqr_update_endpointsI19rocblas_complex_numIfEfEEviPT0_lPiS5_lS6_.kd
    .uniform_work_group_size: 1
    .uses_dynamic_stack: false
    .vgpr_count:     9
    .vgpr_spill_count: 0
    .wavefront_size: 32
    .workgroup_processor_mode: 1
  - .args:
      - .offset:         0
        .size:           4
        .value_kind:     by_value
      - .offset:         4
        .size:           4
        .value_kind:     by_value
      - .address_space:  global
        .offset:         8
        .size:           8
        .value_kind:     global_buffer
      - .address_space:  global
        .offset:         16
        .size:           8
        .value_kind:     global_buffer
      - .offset:         24
        .size:           8
        .value_kind:     by_value
      - .address_space:  global
        .offset:         32
        .size:           8
        .value_kind:     global_buffer
    .group_segment_fixed_size: 0
    .kernarg_segment_align: 8
    .kernarg_segment_size: 40
    .language:       OpenCL C
    .language_version:
      - 2
      - 0
    .max_flat_workgroup_size: 1024
    .name:           _ZN9rocsolver6v33100L19bdsqr_chk_completedI19rocblas_complex_numIfEfEEviiPiPT0_lS4_
    .private_segment_fixed_size: 0
    .sgpr_count:     18
    .sgpr_spill_count: 0
    .symbol:         _ZN9rocsolver6v33100L19bdsqr_chk_completedI19rocblas_complex_numIfEfEEviiPiPT0_lS4_.kd
    .uniform_work_group_size: 1
    .uses_dynamic_stack: false
    .vgpr_count:     4
    .vgpr_spill_count: 0
    .wavefront_size: 32
    .workgroup_processor_mode: 1
  - .args:
      - .offset:         0
        .size:           4
        .value_kind:     by_value
      - .offset:         4
        .size:           4
        .value_kind:     by_value
      - .offset:         8
        .size:           4
        .value_kind:     by_value
      - .offset:         12
        .size:           4
        .value_kind:     by_value
      - .address_space:  global
        .offset:         16
        .size:           8
        .value_kind:     global_buffer
      - .offset:         24
        .size:           8
        .value_kind:     by_value
      - .address_space:  global
        .offset:         32
        .size:           8
        .value_kind:     global_buffer
      - .offset:         40
        .size:           8
        .value_kind:     by_value
      - .address_space:  global
        .offset:         48
        .size:           8
        .value_kind:     global_buffer
      - .offset:         56
        .size:           4
        .value_kind:     by_value
      - .offset:         60
        .size:           4
        .value_kind:     by_value
      - .offset:         64
        .size:           8
        .value_kind:     by_value
      - .address_space:  global
        .offset:         72
        .size:           8
        .value_kind:     global_buffer
      - .offset:         80
        .size:           4
        .value_kind:     by_value
      - .offset:         84
        .size:           4
        .value_kind:     by_value
      - .offset:         88
        .size:           8
        .value_kind:     by_value
      - .address_space:  global
        .offset:         96
        .size:           8
        .value_kind:     global_buffer
      - .offset:         104
        .size:           4
        .value_kind:     by_value
      - .offset:         108
        .size:           4
        .value_kind:     by_value
      - .offset:         112
        .size:           8
        .value_kind:     by_value
      - .address_space:  global
        .offset:         120
        .size:           8
        .value_kind:     global_buffer
      - .address_space:  global
        .offset:         128
        .size:           8
        .value_kind:     global_buffer
      - .address_space:  global
        .offset:         136
        .size:           8
        .value_kind:     global_buffer
      - .offset:         144
        .size:           4
        .value_kind:     hidden_block_count_x
      - .offset:         148
        .size:           4
        .value_kind:     hidden_block_count_y
      - .offset:         152
        .size:           4
        .value_kind:     hidden_block_count_z
      - .offset:         156
        .size:           2
        .value_kind:     hidden_group_size_x
      - .offset:         158
        .size:           2
        .value_kind:     hidden_group_size_y
      - .offset:         160
        .size:           2
        .value_kind:     hidden_group_size_z
      - .offset:         162
        .size:           2
        .value_kind:     hidden_remainder_x
      - .offset:         164
        .size:           2
        .value_kind:     hidden_remainder_y
      - .offset:         166
        .size:           2
        .value_kind:     hidden_remainder_z
      - .offset:         184
        .size:           8
        .value_kind:     hidden_global_offset_x
      - .offset:         192
        .size:           8
        .value_kind:     hidden_global_offset_y
      - .offset:         200
        .size:           8
        .value_kind:     hidden_global_offset_z
      - .offset:         208
        .size:           2
        .value_kind:     hidden_grid_dims
      - .offset:         224
        .size:           8
        .value_kind:     hidden_hostcall_buffer
    .group_segment_fixed_size: 0
    .kernarg_segment_align: 8
    .kernarg_segment_size: 400
    .language:       OpenCL C
    .language_version:
      - 2
      - 0
    .max_flat_workgroup_size: 1024
    .name:           _ZN9rocsolver6v33100L14bdsqr_finalizeI19rocblas_complex_numIfEfPS3_S4_S4_EEviiiiPT0_lS6_lT1_iilT2_iilT3_iilPiSA_SA_
    .private_segment_fixed_size: 64
    .sgpr_count:     66
    .sgpr_spill_count: 0
    .symbol:         _ZN9rocsolver6v33100L14bdsqr_finalizeI19rocblas_complex_numIfEfPS3_S4_S4_EEviiiiPT0_lS6_lT1_iilT2_iilT3_iilPiSA_SA_.kd
    .uniform_work_group_size: 1
    .uses_dynamic_stack: false
    .vgpr_count:     44
    .vgpr_spill_count: 0
    .wavefront_size: 32
    .workgroup_processor_mode: 1
  - .args:
      - .offset:         0
        .size:           4
        .value_kind:     by_value
      - .address_space:  global
        .offset:         8
        .size:           8
        .value_kind:     global_buffer
      - .offset:         16
        .size:           8
        .value_kind:     by_value
      - .address_space:  global
        .offset:         24
        .size:           8
        .value_kind:     global_buffer
      - .offset:         32
        .size:           8
        .value_kind:     by_value
      - .address_space:  global
        .offset:         40
        .size:           8
        .value_kind:     global_buffer
      - .offset:         48
        .size:           4
        .value_kind:     by_value
      - .offset:         56
        .size:           8
        .value_kind:     by_value
      - .offset:         64
        .size:           8
        .value_kind:     by_value
      - .address_space:  global
        .offset:         72
        .size:           8
        .value_kind:     global_buffer
      - .address_space:  global
        .offset:         80
        .size:           8
        .value_kind:     global_buffer
      - .offset:         88
        .size:           8
        .value_kind:     by_value
      - .address_space:  global
        .offset:         96
        .size:           8
        .value_kind:     global_buffer
    .group_segment_fixed_size: 0
    .kernarg_segment_align: 8
    .kernarg_segment_size: 104
    .language:       OpenCL C
    .language_version:
      - 2
      - 0
    .max_flat_workgroup_size: 1024
    .name:           _ZN9rocsolver6v33100L10bdsqr_initI19rocblas_complex_numIdEdEEviPT0_lS5_lPiiS4_S4_S6_S5_lS6_
    .private_segment_fixed_size: 0
    .sgpr_count:     36
    .sgpr_spill_count: 0
    .symbol:         _ZN9rocsolver6v33100L10bdsqr_initI19rocblas_complex_numIdEdEEviPT0_lS5_lPiiS4_S4_S6_S5_lS6_.kd
    .uniform_work_group_size: 1
    .uses_dynamic_stack: false
    .vgpr_count:     14
    .vgpr_spill_count: 0
    .wavefront_size: 32
    .workgroup_processor_mode: 1
  - .args:
      - .offset:         0
        .size:           4
        .value_kind:     by_value
      - .address_space:  global
        .offset:         8
        .size:           8
        .value_kind:     global_buffer
      - .offset:         16
        .size:           4
        .value_kind:     by_value
      - .address_space:  global
        .offset:         24
        .size:           8
        .value_kind:     global_buffer
      - .offset:         32
        .size:           4
        .value_kind:     by_value
      - .offset:         40
        .size:           4
        .value_kind:     hidden_block_count_x
      - .offset:         44
        .size:           4
        .value_kind:     hidden_block_count_y
      - .offset:         48
        .size:           4
        .value_kind:     hidden_block_count_z
      - .offset:         52
        .size:           2
        .value_kind:     hidden_group_size_x
      - .offset:         54
        .size:           2
        .value_kind:     hidden_group_size_y
      - .offset:         56
        .size:           2
        .value_kind:     hidden_group_size_z
      - .offset:         58
        .size:           2
        .value_kind:     hidden_remainder_x
      - .offset:         60
        .size:           2
        .value_kind:     hidden_remainder_y
      - .offset:         62
        .size:           2
        .value_kind:     hidden_remainder_z
      - .offset:         80
        .size:           8
        .value_kind:     hidden_global_offset_x
      - .offset:         88
        .size:           8
        .value_kind:     hidden_global_offset_y
      - .offset:         96
        .size:           8
        .value_kind:     hidden_global_offset_z
      - .offset:         104
        .size:           2
        .value_kind:     hidden_grid_dims
    .group_segment_fixed_size: 32768
    .kernarg_segment_align: 8
    .kernarg_segment_size: 296
    .language:       OpenCL C
    .language_version:
      - 2
      - 0
    .max_flat_workgroup_size: 1024
    .name:           _ZN9rocsolver6v33100L11swap_kernelI19rocblas_complex_numIdEiEEvT0_PT_S4_S6_S4_
    .private_segment_fixed_size: 0
    .sgpr_count:     18
    .sgpr_spill_count: 0
    .symbol:         _ZN9rocsolver6v33100L11swap_kernelI19rocblas_complex_numIdEiEEvT0_PT_S4_S6_S4_.kd
    .uniform_work_group_size: 1
    .uses_dynamic_stack: false
    .vgpr_count:     16
    .vgpr_spill_count: 0
    .wavefront_size: 32
    .workgroup_processor_mode: 1
  - .args:
      - .offset:         0
        .size:           4
        .value_kind:     by_value
      - .address_space:  global
        .offset:         8
        .size:           8
        .value_kind:     global_buffer
      - .offset:         16
        .size:           4
        .value_kind:     by_value
      - .address_space:  global
        .offset:         24
        .size:           8
        .value_kind:     global_buffer
      - .offset:         32
        .size:           4
        .value_kind:     by_value
      - .offset:         40
        .size:           8
        .value_kind:     by_value
      - .offset:         48
        .size:           8
        .value_kind:     by_value
      - .offset:         56
        .size:           4
        .value_kind:     hidden_block_count_x
      - .offset:         60
        .size:           4
        .value_kind:     hidden_block_count_y
      - .offset:         64
        .size:           4
        .value_kind:     hidden_block_count_z
      - .offset:         68
        .size:           2
        .value_kind:     hidden_group_size_x
      - .offset:         70
        .size:           2
        .value_kind:     hidden_group_size_y
      - .offset:         72
        .size:           2
        .value_kind:     hidden_group_size_z
      - .offset:         74
        .size:           2
        .value_kind:     hidden_remainder_x
      - .offset:         76
        .size:           2
        .value_kind:     hidden_remainder_y
      - .offset:         78
        .size:           2
        .value_kind:     hidden_remainder_z
      - .offset:         96
        .size:           8
        .value_kind:     hidden_global_offset_x
      - .offset:         104
        .size:           8
        .value_kind:     hidden_global_offset_y
      - .offset:         112
        .size:           8
        .value_kind:     hidden_global_offset_z
      - .offset:         120
        .size:           2
        .value_kind:     hidden_grid_dims
    .group_segment_fixed_size: 0
    .kernarg_segment_align: 8
    .kernarg_segment_size: 312
    .language:       OpenCL C
    .language_version:
      - 2
      - 0
    .max_flat_workgroup_size: 1024
    .name:           _ZN9rocsolver6v33100L10rot_kernelId19rocblas_complex_numIdEiEEvT1_PT0_S4_S6_S4_T_S7_
    .private_segment_fixed_size: 0
    .sgpr_count:     20
    .sgpr_spill_count: 0
    .symbol:         _ZN9rocsolver6v33100L10rot_kernelId19rocblas_complex_numIdEiEEvT1_PT0_S4_S6_S4_T_S7_.kd
    .uniform_work_group_size: 1
    .uses_dynamic_stack: false
    .vgpr_count:     23
    .vgpr_spill_count: 0
    .wavefront_size: 32
    .workgroup_processor_mode: 1
  - .args:
      - .offset:         0
        .size:           4
        .value_kind:     by_value
      - .offset:         4
        .size:           4
        .value_kind:     by_value
      - .offset:         8
        .size:           4
        .value_kind:     by_value
      - .offset:         12
        .size:           4
        .value_kind:     by_value
      - .offset:         16
        .size:           4
        .value_kind:     by_value
      - .address_space:  global
        .offset:         24
        .size:           8
        .value_kind:     global_buffer
      - .offset:         32
        .size:           8
        .value_kind:     by_value
      - .address_space:  global
        .offset:         40
        .size:           8
        .value_kind:     global_buffer
      - .offset:         48
        .size:           8
        .value_kind:     by_value
      - .address_space:  global
        .offset:         56
        .size:           8
        .value_kind:     global_buffer
      - .offset:         64
        .size:           8
        .value_kind:     by_value
      - .offset:         72
        .size:           4
        .value_kind:     by_value
      - .offset:         80
        .size:           8
        .value_kind:     by_value
      - .offset:         88
        .size:           4
        .value_kind:     by_value
      - .offset:         96
        .size:           4
        .value_kind:     hidden_block_count_x
      - .offset:         100
        .size:           4
        .value_kind:     hidden_block_count_y
      - .offset:         104
        .size:           4
        .value_kind:     hidden_block_count_z
      - .offset:         108
        .size:           2
        .value_kind:     hidden_group_size_x
      - .offset:         110
        .size:           2
        .value_kind:     hidden_group_size_y
      - .offset:         112
        .size:           2
        .value_kind:     hidden_group_size_z
      - .offset:         114
        .size:           2
        .value_kind:     hidden_remainder_x
      - .offset:         116
        .size:           2
        .value_kind:     hidden_remainder_y
      - .offset:         118
        .size:           2
        .value_kind:     hidden_remainder_z
      - .offset:         136
        .size:           8
        .value_kind:     hidden_global_offset_x
      - .offset:         144
        .size:           8
        .value_kind:     hidden_global_offset_y
      - .offset:         152
        .size:           8
        .value_kind:     hidden_global_offset_z
      - .offset:         160
        .size:           2
        .value_kind:     hidden_grid_dims
    .group_segment_fixed_size: 0
    .kernarg_segment_align: 8
    .kernarg_segment_size: 352
    .language:       OpenCL C
    .language_version:
      - 2
      - 0
    .max_flat_workgroup_size: 64
    .name:           _ZN9rocsolver6v33100L11lasr_kernelI19rocblas_complex_numIdEdPS3_iEEv13rocblas_side_14rocblas_pivot_15rocblas_direct_T2_S8_PT0_lSA_lT1_lS8_lS8_
    .private_segment_fixed_size: 0
    .sgpr_count:     91
    .sgpr_spill_count: 0
    .symbol:         _ZN9rocsolver6v33100L11lasr_kernelI19rocblas_complex_numIdEdPS3_iEEv13rocblas_side_14rocblas_pivot_15rocblas_direct_T2_S8_PT0_lSA_lT1_lS8_lS8_.kd
    .uniform_work_group_size: 1
    .uses_dynamic_stack: false
    .vgpr_count:     55
    .vgpr_spill_count: 0
    .wavefront_size: 32
    .workgroup_processor_mode: 1
  - .args:
      - .offset:         0
        .size:           4
        .value_kind:     by_value
      - .offset:         8
        .size:           8
        .value_kind:     by_value
      - .address_space:  global
        .offset:         16
        .size:           8
        .value_kind:     global_buffer
      - .offset:         24
        .size:           4
        .value_kind:     by_value
      - .offset:         32
        .size:           4
        .value_kind:     hidden_block_count_x
      - .offset:         36
        .size:           4
        .value_kind:     hidden_block_count_y
      - .offset:         40
        .size:           4
        .value_kind:     hidden_block_count_z
      - .offset:         44
        .size:           2
        .value_kind:     hidden_group_size_x
      - .offset:         46
        .size:           2
        .value_kind:     hidden_group_size_y
      - .offset:         48
        .size:           2
        .value_kind:     hidden_group_size_z
      - .offset:         50
        .size:           2
        .value_kind:     hidden_remainder_x
      - .offset:         52
        .size:           2
        .value_kind:     hidden_remainder_y
      - .offset:         54
        .size:           2
        .value_kind:     hidden_remainder_z
      - .offset:         72
        .size:           8
        .value_kind:     hidden_global_offset_x
      - .offset:         80
        .size:           8
        .value_kind:     hidden_global_offset_y
      - .offset:         88
        .size:           8
        .value_kind:     hidden_global_offset_z
      - .offset:         96
        .size:           2
        .value_kind:     hidden_grid_dims
    .group_segment_fixed_size: 0
    .kernarg_segment_align: 8
    .kernarg_segment_size: 288
    .language:       OpenCL C
    .language_version:
      - 2
      - 0
    .max_flat_workgroup_size: 1024
    .name:           _ZN9rocsolver6v33100L11scal_kernelId19rocblas_complex_numIdEiEEvT1_T_PT0_S4_
    .private_segment_fixed_size: 0
    .sgpr_count:     14
    .sgpr_spill_count: 0
    .symbol:         _ZN9rocsolver6v33100L11scal_kernelId19rocblas_complex_numIdEiEEvT1_T_PT0_S4_.kd
    .uniform_work_group_size: 1
    .uses_dynamic_stack: false
    .vgpr_count:     8
    .vgpr_spill_count: 0
    .wavefront_size: 32
    .workgroup_processor_mode: 1
  - .args:
      - .offset:         0
        .size:           4
        .value_kind:     by_value
      - .offset:         4
        .size:           4
        .value_kind:     by_value
      - .offset:         8
        .size:           4
        .value_kind:     by_value
      - .address_space:  global
        .offset:         16
        .size:           8
        .value_kind:     global_buffer
      - .offset:         24
        .size:           8
        .value_kind:     by_value
      - .address_space:  global
        .offset:         32
        .size:           8
        .value_kind:     global_buffer
      - .offset:         40
        .size:           8
        .value_kind:     by_value
      - .address_space:  global
        .offset:         48
        .size:           8
        .value_kind:     global_buffer
      - .offset:         56
        .size:           4
        .value_kind:     by_value
      - .offset:         60
        .size:           4
        .value_kind:     by_value
      - .offset:         64
        .size:           8
        .value_kind:     by_value
      - .address_space:  global
        .offset:         72
        .size:           8
        .value_kind:     global_buffer
      - .offset:         80
        .size:           4
        .value_kind:     by_value
      - .offset:         84
        .size:           4
        .value_kind:     by_value
      - .offset:         88
        .size:           8
        .value_kind:     by_value
      - .address_space:  global
        .offset:         96
        .size:           8
        .value_kind:     global_buffer
      - .address_space:  global
        .offset:         104
        .size:           8
        .value_kind:     global_buffer
      - .offset:         112
        .size:           8
        .value_kind:     by_value
      - .address_space:  global
        .offset:         120
        .size:           8
        .value_kind:     global_buffer
      - .offset:         128
        .size:           4
        .value_kind:     hidden_block_count_x
      - .offset:         132
        .size:           4
        .value_kind:     hidden_block_count_y
      - .offset:         136
        .size:           4
        .value_kind:     hidden_block_count_z
      - .offset:         140
        .size:           2
        .value_kind:     hidden_group_size_x
      - .offset:         142
        .size:           2
        .value_kind:     hidden_group_size_y
      - .offset:         144
        .size:           2
        .value_kind:     hidden_group_size_z
      - .offset:         146
        .size:           2
        .value_kind:     hidden_remainder_x
      - .offset:         148
        .size:           2
        .value_kind:     hidden_remainder_y
      - .offset:         150
        .size:           2
        .value_kind:     hidden_remainder_z
      - .offset:         168
        .size:           8
        .value_kind:     hidden_global_offset_x
      - .offset:         176
        .size:           8
        .value_kind:     hidden_global_offset_y
      - .offset:         184
        .size:           8
        .value_kind:     hidden_global_offset_z
      - .offset:         192
        .size:           2
        .value_kind:     hidden_grid_dims
    .group_segment_fixed_size: 0
    .kernarg_segment_align: 8
    .kernarg_segment_size: 384
    .language:       OpenCL C
    .language_version:
      - 2
      - 0
    .max_flat_workgroup_size: 1024
    .name:           _ZN9rocsolver6v33100L17bdsqr_lower2upperI19rocblas_complex_numIdEdPS3_S4_EEviiiPT0_lS6_lT1_iilT2_iilPiS6_lS9_
    .private_segment_fixed_size: 0
    .sgpr_count:     40
    .sgpr_spill_count: 0
    .symbol:         _ZN9rocsolver6v33100L17bdsqr_lower2upperI19rocblas_complex_numIdEdPS3_S4_EEviiiPT0_lS6_lT1_iilT2_iilPiS6_lS9_.kd
    .uniform_work_group_size: 1
    .uses_dynamic_stack: false
    .vgpr_count:     29
    .vgpr_spill_count: 0
    .wavefront_size: 32
    .workgroup_processor_mode: 1
  - .args:
      - .offset:         0
        .size:           4
        .value_kind:     by_value
      - .offset:         4
        .size:           4
        .value_kind:     by_value
      - .offset:         8
        .size:           4
        .value_kind:     by_value
      - .offset:         12
        .size:           4
        .value_kind:     by_value
      - .address_space:  global
        .offset:         16
        .size:           8
        .value_kind:     global_buffer
      - .offset:         24
        .size:           8
        .value_kind:     by_value
      - .address_space:  global
        .offset:         32
        .size:           8
        .value_kind:     global_buffer
      - .offset:         40
        .size:           8
        .value_kind:     by_value
      - .address_space:  global
        .offset:         48
        .size:           8
        .value_kind:     global_buffer
      - .offset:         56
        .size:           4
        .value_kind:     by_value
      - .offset:         60
        .size:           4
        .value_kind:     by_value
      - .offset:         64
        .size:           8
        .value_kind:     by_value
      - .address_space:  global
        .offset:         72
        .size:           8
        .value_kind:     global_buffer
      - .offset:         80
        .size:           4
        .value_kind:     by_value
      - .offset:         84
        .size:           4
        .value_kind:     by_value
      - .offset:         88
        .size:           8
        .value_kind:     by_value
      - .address_space:  global
        .offset:         96
        .size:           8
        .value_kind:     global_buffer
      - .offset:         104
        .size:           4
        .value_kind:     by_value
      - .offset:         108
        .size:           4
        .value_kind:     by_value
      - .offset:         112
        .size:           8
        .value_kind:     by_value
      - .offset:         120
        .size:           4
        .value_kind:     by_value
      - .offset:         128
        .size:           8
        .value_kind:     by_value
      - .offset:         136
        .size:           8
        .value_kind:     by_value
      - .offset:         144
        .size:           8
        .value_kind:     by_value
      - .offset:         152
        .size:           8
        .value_kind:     by_value
      - .address_space:  global
        .offset:         160
        .size:           8
        .value_kind:     global_buffer
      - .address_space:  global
        .offset:         168
        .size:           8
        .value_kind:     global_buffer
      - .offset:         176
        .size:           4
        .value_kind:     by_value
      - .offset:         184
        .size:           8
        .value_kind:     by_value
      - .address_space:  global
        .offset:         192
        .size:           8
        .value_kind:     global_buffer
      - .offset:         200
        .size:           4
        .value_kind:     hidden_block_count_x
      - .offset:         204
        .size:           4
        .value_kind:     hidden_block_count_y
      - .offset:         208
        .size:           4
        .value_kind:     hidden_block_count_z
      - .offset:         212
        .size:           2
        .value_kind:     hidden_group_size_x
      - .offset:         214
        .size:           2
        .value_kind:     hidden_group_size_y
      - .offset:         216
        .size:           2
        .value_kind:     hidden_group_size_z
      - .offset:         218
        .size:           2
        .value_kind:     hidden_remainder_x
      - .offset:         220
        .size:           2
        .value_kind:     hidden_remainder_y
      - .offset:         222
        .size:           2
        .value_kind:     hidden_remainder_z
      - .offset:         240
        .size:           8
        .value_kind:     hidden_global_offset_x
      - .offset:         248
        .size:           8
        .value_kind:     hidden_global_offset_y
      - .offset:         256
        .size:           8
        .value_kind:     hidden_global_offset_z
      - .offset:         264
        .size:           2
        .value_kind:     hidden_grid_dims
    .group_segment_fixed_size: 2072
    .kernarg_segment_align: 8
    .kernarg_segment_size: 456
    .language:       OpenCL C
    .language_version:
      - 2
      - 0
    .max_flat_workgroup_size: 1024
    .name:           _ZN9rocsolver6v33100L13bdsqr_computeILi256E19rocblas_complex_numIdEdPS3_S4_S4_EEviiiiPT1_lS6_lT2_iilT3_iilT4_iiliS5_S5_S5_S5_PiS6_ilSA_
    .private_segment_fixed_size: 0
    .sgpr_count:     107
    .sgpr_spill_count: 10
    .symbol:         _ZN9rocsolver6v33100L13bdsqr_computeILi256E19rocblas_complex_numIdEdPS3_S4_S4_EEviiiiPT1_lS6_lT2_iilT3_iilT4_iiliS5_S5_S5_S5_PiS6_ilSA_.kd
    .uniform_work_group_size: 1
    .uses_dynamic_stack: false
    .vgpr_count:     41
    .vgpr_spill_count: 0
    .wavefront_size: 32
    .workgroup_processor_mode: 1
  - .args:
      - .offset:         0
        .size:           4
        .value_kind:     by_value
      - .offset:         4
        .size:           4
        .value_kind:     by_value
      - .offset:         8
        .size:           4
        .value_kind:     by_value
      - .offset:         12
        .size:           4
        .value_kind:     by_value
      - .address_space:  global
        .offset:         16
        .size:           8
        .value_kind:     global_buffer
      - .offset:         24
        .size:           4
        .value_kind:     by_value
      - .offset:         28
        .size:           4
        .value_kind:     by_value
      - .offset:         32
        .size:           8
        .value_kind:     by_value
      - .address_space:  global
        .offset:         40
        .size:           8
        .value_kind:     global_buffer
      - .offset:         48
        .size:           4
        .value_kind:     by_value
      - .offset:         52
        .size:           4
        .value_kind:     by_value
      - .offset:         56
        .size:           8
        .value_kind:     by_value
      - .address_space:  global
        .offset:         64
        .size:           8
        .value_kind:     global_buffer
      - .offset:         72
        .size:           4
        .value_kind:     by_value
      - .offset:         76
        .size:           4
        .value_kind:     by_value
      - .offset:         80
        .size:           8
        .value_kind:     by_value
      - .offset:         88
        .size:           4
        .value_kind:     by_value
      - .address_space:  global
        .offset:         96
        .size:           8
        .value_kind:     global_buffer
      - .address_space:  global
        .offset:         104
        .size:           8
        .value_kind:     global_buffer
      - .offset:         112
        .size:           4
        .value_kind:     by_value
      - .offset:         120
        .size:           8
        .value_kind:     by_value
      - .address_space:  global
        .offset:         128
        .size:           8
        .value_kind:     global_buffer
      - .offset:         136
        .size:           4
        .value_kind:     hidden_block_count_x
      - .offset:         140
        .size:           4
        .value_kind:     hidden_block_count_y
      - .offset:         144
        .size:           4
        .value_kind:     hidden_block_count_z
      - .offset:         148
        .size:           2
        .value_kind:     hidden_group_size_x
      - .offset:         150
        .size:           2
        .value_kind:     hidden_group_size_y
      - .offset:         152
        .size:           2
        .value_kind:     hidden_group_size_z
      - .offset:         154
        .size:           2
        .value_kind:     hidden_remainder_x
      - .offset:         156
        .size:           2
        .value_kind:     hidden_remainder_y
      - .offset:         158
        .size:           2
        .value_kind:     hidden_remainder_z
      - .offset:         176
        .size:           8
        .value_kind:     hidden_global_offset_x
      - .offset:         184
        .size:           8
        .value_kind:     hidden_global_offset_y
      - .offset:         192
        .size:           8
        .value_kind:     hidden_global_offset_z
      - .offset:         200
        .size:           2
        .value_kind:     hidden_grid_dims
    .group_segment_fixed_size: 0
    .kernarg_segment_align: 8
    .kernarg_segment_size: 392
    .language:       OpenCL C
    .language_version:
      - 2
      - 0
    .max_flat_workgroup_size: 1024
    .name:           _ZN9rocsolver6v33100L12bdsqr_rotateI19rocblas_complex_numIdEdPS3_S4_S4_EEviiiiT1_iilT2_iilT3_iiliPiPT0_ilS8_
    .private_segment_fixed_size: 0
    .sgpr_count:     44
    .sgpr_spill_count: 0
    .symbol:         _ZN9rocsolver6v33100L12bdsqr_rotateI19rocblas_complex_numIdEdPS3_S4_S4_EEviiiiT1_iilT2_iilT3_iiliPiPT0_ilS8_.kd
    .uniform_work_group_size: 1
    .uses_dynamic_stack: false
    .vgpr_count:     31
    .vgpr_spill_count: 0
    .wavefront_size: 32
    .workgroup_processor_mode: 1
  - .args:
      - .offset:         0
        .size:           4
        .value_kind:     by_value
      - .address_space:  global
        .offset:         8
        .size:           8
        .value_kind:     global_buffer
      - .offset:         16
        .size:           8
        .value_kind:     by_value
      - .address_space:  global
        .offset:         24
        .size:           8
        .value_kind:     global_buffer
      - .address_space:  global
        .offset:         32
        .size:           8
        .value_kind:     global_buffer
      - .offset:         40
        .size:           8
        .value_kind:     by_value
      - .address_space:  global
        .offset:         48
        .size:           8
        .value_kind:     global_buffer
      - .offset:         56
        .size:           4
        .value_kind:     hidden_block_count_x
      - .offset:         60
        .size:           4
        .value_kind:     hidden_block_count_y
      - .offset:         64
        .size:           4
        .value_kind:     hidden_block_count_z
      - .offset:         68
        .size:           2
        .value_kind:     hidden_group_size_x
      - .offset:         70
        .size:           2
        .value_kind:     hidden_group_size_y
      - .offset:         72
        .size:           2
        .value_kind:     hidden_group_size_z
      - .offset:         74
        .size:           2
        .value_kind:     hidden_remainder_x
      - .offset:         76
        .size:           2
        .value_kind:     hidden_remainder_y
      - .offset:         78
        .size:           2
        .value_kind:     hidden_remainder_z
      - .offset:         96
        .size:           8
        .value_kind:     hidden_global_offset_x
      - .offset:         104
        .size:           8
        .value_kind:     hidden_global_offset_y
      - .offset:         112
        .size:           8
        .value_kind:     hidden_global_offset_z
      - .offset:         120
        .size:           2
        .value_kind:     hidden_grid_dims
    .group_segment_fixed_size: 0
    .kernarg_segment_align: 8
    .kernarg_segment_size: 312
    .language:       OpenCL C
    .language_version:
      - 2
      - 0
    .max_flat_workgroup_size: 1024
    .name:           _ZN9rocsolver6v33100L22bdsqr_update_endpointsI19rocblas_complex_numIdEdEEviPT0_lPiS5_lS6_
    .private_segment_fixed_size: 0
    .sgpr_count:     26
    .sgpr_spill_count: 0
    .symbol:         _ZN9rocsolver6v33100L22bdsqr_update_endpointsI19rocblas_complex_numIdEdEEviPT0_lPiS5_lS6_.kd
    .uniform_work_group_size: 1
    .uses_dynamic_stack: false
    .vgpr_count:     14
    .vgpr_spill_count: 0
    .wavefront_size: 32
    .workgroup_processor_mode: 1
  - .args:
      - .offset:         0
        .size:           4
        .value_kind:     by_value
      - .offset:         4
        .size:           4
        .value_kind:     by_value
      - .address_space:  global
        .offset:         8
        .size:           8
        .value_kind:     global_buffer
      - .address_space:  global
        .offset:         16
        .size:           8
        .value_kind:     global_buffer
      - .offset:         24
        .size:           8
        .value_kind:     by_value
      - .address_space:  global
        .offset:         32
        .size:           8
        .value_kind:     global_buffer
    .group_segment_fixed_size: 0
    .kernarg_segment_align: 8
    .kernarg_segment_size: 40
    .language:       OpenCL C
    .language_version:
      - 2
      - 0
    .max_flat_workgroup_size: 1024
    .name:           _ZN9rocsolver6v33100L19bdsqr_chk_completedI19rocblas_complex_numIdEdEEviiPiPT0_lS4_
    .private_segment_fixed_size: 0
    .sgpr_count:     22
    .sgpr_spill_count: 0
    .symbol:         _ZN9rocsolver6v33100L19bdsqr_chk_completedI19rocblas_complex_numIdEdEEviiPiPT0_lS4_.kd
    .uniform_work_group_size: 1
    .uses_dynamic_stack: false
    .vgpr_count:     6
    .vgpr_spill_count: 0
    .wavefront_size: 32
    .workgroup_processor_mode: 1
  - .args:
      - .offset:         0
        .size:           4
        .value_kind:     by_value
      - .offset:         4
        .size:           4
        .value_kind:     by_value
      - .offset:         8
        .size:           4
        .value_kind:     by_value
      - .offset:         12
        .size:           4
        .value_kind:     by_value
      - .address_space:  global
        .offset:         16
        .size:           8
        .value_kind:     global_buffer
      - .offset:         24
        .size:           8
        .value_kind:     by_value
      - .address_space:  global
        .offset:         32
        .size:           8
        .value_kind:     global_buffer
      - .offset:         40
        .size:           8
        .value_kind:     by_value
      - .address_space:  global
        .offset:         48
        .size:           8
        .value_kind:     global_buffer
      - .offset:         56
        .size:           4
        .value_kind:     by_value
      - .offset:         60
        .size:           4
        .value_kind:     by_value
      - .offset:         64
        .size:           8
        .value_kind:     by_value
      - .address_space:  global
        .offset:         72
        .size:           8
        .value_kind:     global_buffer
      - .offset:         80
        .size:           4
        .value_kind:     by_value
      - .offset:         84
        .size:           4
        .value_kind:     by_value
      - .offset:         88
        .size:           8
        .value_kind:     by_value
      - .address_space:  global
        .offset:         96
        .size:           8
        .value_kind:     global_buffer
      - .offset:         104
        .size:           4
        .value_kind:     by_value
      - .offset:         108
        .size:           4
        .value_kind:     by_value
      - .offset:         112
        .size:           8
        .value_kind:     by_value
      - .address_space:  global
        .offset:         120
        .size:           8
        .value_kind:     global_buffer
      - .address_space:  global
        .offset:         128
        .size:           8
        .value_kind:     global_buffer
      - .address_space:  global
        .offset:         136
        .size:           8
        .value_kind:     global_buffer
      - .offset:         144
        .size:           4
        .value_kind:     hidden_block_count_x
      - .offset:         148
        .size:           4
        .value_kind:     hidden_block_count_y
      - .offset:         152
        .size:           4
        .value_kind:     hidden_block_count_z
      - .offset:         156
        .size:           2
        .value_kind:     hidden_group_size_x
      - .offset:         158
        .size:           2
        .value_kind:     hidden_group_size_y
      - .offset:         160
        .size:           2
        .value_kind:     hidden_group_size_z
      - .offset:         162
        .size:           2
        .value_kind:     hidden_remainder_x
      - .offset:         164
        .size:           2
        .value_kind:     hidden_remainder_y
      - .offset:         166
        .size:           2
        .value_kind:     hidden_remainder_z
      - .offset:         184
        .size:           8
        .value_kind:     hidden_global_offset_x
      - .offset:         192
        .size:           8
        .value_kind:     hidden_global_offset_y
      - .offset:         200
        .size:           8
        .value_kind:     hidden_global_offset_z
      - .offset:         208
        .size:           2
        .value_kind:     hidden_grid_dims
      - .offset:         224
        .size:           8
        .value_kind:     hidden_hostcall_buffer
    .group_segment_fixed_size: 65536
    .kernarg_segment_align: 8
    .kernarg_segment_size: 400
    .language:       OpenCL C
    .language_version:
      - 2
      - 0
    .max_flat_workgroup_size: 1024
    .name:           _ZN9rocsolver6v33100L14bdsqr_finalizeI19rocblas_complex_numIdEdPS3_S4_S4_EEviiiiPT0_lS6_lT1_iilT2_iilT3_iilPiSA_SA_
    .private_segment_fixed_size: 112
    .sgpr_count:     66
    .sgpr_spill_count: 0
    .symbol:         _ZN9rocsolver6v33100L14bdsqr_finalizeI19rocblas_complex_numIdEdPS3_S4_S4_EEviiiiPT0_lS6_lT1_iilT2_iilT3_iilPiSA_SA_.kd
    .uniform_work_group_size: 1
    .uses_dynamic_stack: false
    .vgpr_count:     45
    .vgpr_spill_count: 0
    .wavefront_size: 32
    .workgroup_processor_mode: 1
amdhsa.target:   amdgcn-amd-amdhsa--gfx1030
amdhsa.version:
  - 1
  - 2
...

	.end_amdgpu_metadata
